;; amdgpu-corpus repo=ROCm/rocFFT kind=compiled arch=gfx950 opt=O3
	.text
	.amdgcn_target "amdgcn-amd-amdhsa--gfx950"
	.amdhsa_code_object_version 6
	.protected	bluestein_single_fwd_len5488_dim1_sp_op_CI_CI ; -- Begin function bluestein_single_fwd_len5488_dim1_sp_op_CI_CI
	.globl	bluestein_single_fwd_len5488_dim1_sp_op_CI_CI
	.p2align	8
	.type	bluestein_single_fwd_len5488_dim1_sp_op_CI_CI,@function
bluestein_single_fwd_len5488_dim1_sp_op_CI_CI: ; @bluestein_single_fwd_len5488_dim1_sp_op_CI_CI
; %bb.0:
	s_load_dwordx4 s[4:7], s[0:1], 0x28
	v_mul_u32_u24_e32 v1, 0x14f, v0
	v_add_u32_sdwa v244, s2, v1 dst_sel:DWORD dst_unused:UNUSED_PAD src0_sel:DWORD src1_sel:WORD_1
	v_mov_b32_e32 v245, 0
	s_waitcnt lgkmcnt(0)
	v_cmp_gt_u64_e32 vcc, s[4:5], v[244:245]
	s_and_saveexec_b64 s[2:3], vcc
	s_cbranch_execz .LBB0_2
; %bb.1:
	s_load_dwordx4 s[12:15], s[0:1], 0x18
	s_load_dwordx4 s[8:11], s[0:1], 0x0
	v_mov_b32_e32 v2, s6
	v_mov_b32_e32 v3, s7
	s_movk_i32 s22, 0xc4
	s_waitcnt lgkmcnt(0)
	s_load_dwordx4 s[4:7], s[14:15], 0x0
	v_mul_lo_u16_sdwa v1, v1, s22 dst_sel:DWORD dst_unused:UNUSED_PAD src0_sel:WORD_1 src1_sel:DWORD
	s_load_dwordx4 s[12:15], s[12:13], 0x0
	v_sub_u16_e32 v184, v0, v1
	v_mov_b32_e32 v166, 0x1880
	s_waitcnt lgkmcnt(0)
	v_mad_u64_u32 v[4:5], s[2:3], s6, v244, 0
	v_mov_b32_e32 v0, v5
	v_mad_u64_u32 v[0:1], s[2:3], s7, v244, v[0:1]
	v_accvgpr_write_b32 a2, v0
	v_mad_u64_u32 v[0:1], s[2:3], s14, v244, 0
	v_accvgpr_write_b32 a0, v4
	v_mov_b32_e32 v4, v1
	v_mad_u64_u32 v[4:5], s[2:3], s15, v244, v[4:5]
	v_mov_b32_e32 v1, v4
	v_mad_u64_u32 v[4:5], s[2:3], s12, v184, 0
	;; [unrolled: 2-line block ×3, first 2 shown]
	v_mov_b32_e32 v5, v6
	v_lshl_add_u64 v[0:1], v[0:1], 3, v[2:3]
	v_lshl_add_u64 v[0:1], v[4:5], 3, v[0:1]
	v_lshlrev_b32_e32 v244, 3, v184
	global_load_dwordx2 v[24:25], v[0:1], off
	v_lshl_add_u64 v[230:231], s[8:9], 0, v[244:245]
	v_mad_u64_u32 v[0:1], s[2:3], s12, v166, v[0:1]
	s_movk_i32 s15, 0x1000
	global_load_dwordx2 v[44:45], v244, s[8:9]
	s_mul_i32 s2, s13, 0x1880
	v_add_co_u32_e32 v14, vcc, s15, v230
	v_add_u32_e32 v1, s2, v1
	s_nop 0
	v_addc_co_u32_e32 v15, vcc, 0, v231, vcc
	s_movk_i32 s17, 0x3000
	global_load_dwordx2 v[8:9], v[0:1], off
	global_load_dwordx2 v[60:61], v[14:15], off offset:2176
	v_add_co_u32_e32 v2, vcc, s17, v230
	v_mad_u64_u32 v[0:1], s[6:7], s12, v166, v[0:1]
	s_nop 0
	v_addc_co_u32_e32 v3, vcc, 0, v231, vcc
	global_load_dwordx2 v[46:47], v[2:3], off offset:256
	s_movk_i32 s3, 0x4000
	v_add_u32_e32 v1, s2, v1
	v_add_co_u32_e32 v12, vcc, s3, v230
	v_mad_u64_u32 v[4:5], s[6:7], s12, v166, v[0:1]
	s_nop 0
	v_addc_co_u32_e32 v13, vcc, 0, v231, vcc
	global_load_dwordx2 v[26:27], v[0:1], off
	global_load_dwordx2 v[58:59], v[12:13], off offset:2432
	v_add_u32_e32 v5, s2, v5
	s_movk_i32 s3, 0x6000
	v_mad_u64_u32 v[0:1], s[6:7], s12, v166, v[4:5]
	v_add_co_u32_e32 v32, vcc, s3, v230
	v_add_u32_e32 v1, s2, v1
	global_load_dwordx2 v[18:19], v[4:5], off
	global_load_dwordx2 v[16:17], v[0:1], off
	v_addc_co_u32_e32 v33, vcc, 0, v231, vcc
	global_load_dwordx2 v[50:51], v[32:33], off offset:512
	v_mad_u64_u32 v[0:1], s[6:7], s12, v166, v[0:1]
	v_add_u32_e32 v1, s2, v1
	s_movk_i32 s6, 0x7000
	v_add_co_u32_e32 v6, vcc, s6, v230
	v_mad_u64_u32 v[20:21], s[6:7], s12, v166, v[0:1]
	s_nop 0
	v_addc_co_u32_e32 v7, vcc, 0, v231, vcc
	v_add_u32_e32 v21, s2, v21
	s_mov_b32 s6, 0x9000
	v_mov_b32_e32 v22, 0xffff7320
	global_load_dwordx2 v[4:5], v[0:1], off
	v_add_co_u32_e32 v0, vcc, s6, v230
	v_mad_u64_u32 v[22:23], s[6:7], s12, v22, v[20:21]
	s_mul_i32 s6, s13, 0xffff7320
	s_sub_i32 s6, s6, s12
	v_add_u32_e32 v23, s6, v23
	v_mad_u64_u32 v[28:29], s[18:19], s12, v166, v[22:23]
	v_add_u32_e32 v29, s2, v29
	v_mad_u64_u32 v[30:31], s[18:19], s12, v166, v[28:29]
	;; [unrolled: 2-line block ×3, first 2 shown]
	v_addc_co_u32_e32 v1, vcc, 0, v231, vcc
	v_add_u32_e32 v35, s2, v35
	global_load_dwordx2 v[56:57], v[6:7], off offset:2688
	global_load_dwordx2 v[48:49], v[0:1], off offset:768
	global_load_dwordx2 v[10:11], v[20:21], off
	s_nop 0
	global_load_dwordx2 v[20:21], v[22:23], off
	global_load_dwordx2 v[54:55], v244, s[8:9] offset:1568
	s_nop 0
	global_load_dwordx2 v[22:23], v[28:29], off
	global_load_dwordx2 v[52:53], v[14:15], off offset:3744
	s_nop 0
	global_load_dwordx2 v[28:29], v[30:31], off
	global_load_dwordx2 v[40:41], v[2:3], off offset:1824
	;; [unrolled: 3-line block ×3, first 2 shown]
	global_load_dwordx2 v[42:43], v[32:33], off offset:3648
	global_load_dwordx2 v[64:65], v[12:13], off offset:4000
	v_mad_u64_u32 v[32:33], s[18:19], s12, v166, v[34:35]
	v_add_u32_e32 v33, s2, v33
	global_load_dwordx2 v[34:35], v[32:33], off
	s_waitcnt vmcnt(23)
	v_mul_f32_e32 v36, v25, v45
	v_fmac_f32_e32 v36, v24, v44
	v_mul_f32_e32 v24, v24, v45
	v_accvgpr_write_b32 a51, v45
	v_fma_f32 v37, v25, v44, -v24
	v_accvgpr_write_b32 a50, v44
	global_load_dwordx2 v[44:45], v[14:15], off offset:608
	global_load_dwordx2 v[62:63], v244, s[8:9] offset:3136
	s_mov_b32 s13, 0x8000
	s_waitcnt vmcnt(23)
	v_mul_f32_e32 v14, v9, v61
	v_fmac_f32_e32 v14, v8, v60
	v_mul_f32_e32 v8, v8, v61
	v_fma_f32 v15, v9, v60, -v8
	v_accvgpr_write_b32 a58, v60
	ds_write_b64 v244, v[14:15] offset:6272
	v_accvgpr_write_b32 a59, v61
	s_waitcnt vmcnt(22)
	v_accvgpr_write_b32 a53, v47
	v_accvgpr_write_b32 a52, v46
	s_mov_b32 s7, 0
	v_mov_b32_e32 v185, s7
	s_movk_i32 s7, 0x2000
	s_mov_b32 s14, 0x3f5ff5aa
	s_mov_b32 s18, 0x3eae86e6
	;; [unrolled: 1-line block ×3, first 2 shown]
	s_waitcnt vmcnt(21)
	v_mul_f32_e32 v8, v27, v47
	v_mul_f32_e32 v9, v26, v47
	v_fmac_f32_e32 v8, v26, v46
	v_fma_f32 v9, v27, v46, -v9
	ds_write_b64 v244, v[8:9] offset:12544
	global_load_dwordx2 v[60:61], v[2:3], off offset:3392
	global_load_dwordx2 v[46:47], v[12:13], off offset:864
	v_add_co_u32_e32 v12, vcc, s13, v230
	s_waitcnt vmcnt(21)
	v_mul_f32_e32 v2, v19, v59
	v_mul_f32_e32 v3, v18, v59
	v_fmac_f32_e32 v2, v18, v58
	v_fma_f32 v3, v19, v58, -v3
	ds_write_b64 v244, v[2:3] offset:18816
	s_waitcnt vmcnt(19)
	v_mul_f32_e32 v2, v17, v51
	v_mul_f32_e32 v3, v16, v51
	v_fmac_f32_e32 v2, v16, v50
	v_fma_f32 v3, v17, v50, -v3
	ds_write_b64 v244, v[2:3] offset:25088
	v_mad_u64_u32 v[2:3], s[8:9], s12, v166, v[32:33]
	v_add_u32_e32 v3, s2, v3
	global_load_dwordx2 v[8:9], v[2:3], off
	v_accvgpr_write_b32 a54, v58
	v_accvgpr_write_b32 a46, v50
	v_addc_co_u32_e32 v13, vcc, 0, v231, vcc
	v_accvgpr_write_b32 a55, v59
	v_accvgpr_write_b32 a47, v51
	global_load_dwordx2 v[58:59], v[12:13], off offset:160
	global_load_dwordx2 v[70:71], v[0:1], off offset:2336
	;; [unrolled: 1-line block ×3, first 2 shown]
	v_mad_u64_u32 v[2:3], s[8:9], s12, v166, v[2:3]
	v_add_u32_e32 v3, s2, v3
	s_mov_b64 s[8:9], 0xc4
	global_load_dwordx2 v[14:15], v[2:3], off
	s_mov_b32 s20, s19
	s_mov_b32 s21, s18
	;; [unrolled: 1-line block ×3, first 2 shown]
	s_load_dwordx2 s[0:1], s[0:1], 0x38
	s_waitcnt vmcnt(22)
	v_mul_f32_e32 v6, v5, v57
	v_fmac_f32_e32 v6, v4, v56
	v_mul_f32_e32 v4, v4, v57
	v_fma_f32 v7, v5, v56, -v4
	s_waitcnt vmcnt(20)
	v_mul_f32_e32 v4, v11, v49
	v_mul_f32_e32 v5, v10, v49
	v_accvgpr_write_b32 a48, v48
	v_fmac_f32_e32 v4, v10, v48
	v_fma_f32 v5, v11, v48, -v5
	v_accvgpr_write_b32 a49, v49
	s_waitcnt vmcnt(9)
	v_mul_f32_e32 v16, v35, v39
	v_fmac_f32_e32 v16, v34, v38
	v_mul_f32_e32 v17, v34, v39
	v_mov_b32_e32 v34, 0xffff7320
	v_lshl_add_u64 v[48:49], v[184:185], 0, s[8:9]
	v_mad_u64_u32 v[2:3], s[8:9], s12, v34, v[2:3]
	ds_write_b64 v244, v[4:5] offset:37632
	v_mul_f32_e32 v4, v21, v55
	v_mul_f32_e32 v5, v20, v55
	v_add_u32_e32 v3, s6, v3
	v_fmac_f32_e32 v4, v20, v54
	v_fma_f32 v5, v21, v54, -v5
	global_load_dwordx2 v[18:19], v[2:3], off
	v_mad_u64_u32 v[2:3], s[8:9], s12, v166, v[2:3]
	ds_write_b64 v244, v[6:7] offset:31360
	ds_write2_b64 v244, v[36:37], v[4:5] offset1:196
	v_mul_f32_e32 v4, v23, v53
	v_add_u32_e32 v3, s2, v3
	v_fmac_f32_e32 v4, v22, v52
	v_mul_f32_e32 v5, v22, v53
	global_load_dwordx2 v[20:21], v[2:3], off
	v_add_co_u32_e32 v22, vcc, s7, v230
	v_mad_u64_u32 v[2:3], s[8:9], s12, v166, v[2:3]
	v_fma_f32 v5, v23, v52, -v5
	v_addc_co_u32_e32 v23, vcc, 0, v231, vcc
	v_add_u32_e32 v3, s2, v3
	global_load_dwordx2 v[72:73], v[22:23], off offset:1216
	global_load_dwordx2 v[24:25], v[2:3], off
	v_mad_u64_u32 v[2:3], s[8:9], s12, v166, v[2:3]
	v_mul_f32_e32 v6, v29, v41
	v_add_u32_e32 v3, s2, v3
	s_movk_i32 s7, 0x5000
	v_fmac_f32_e32 v6, v28, v40
	v_mul_f32_e32 v7, v28, v41
	global_load_dwordx2 v[26:27], v[2:3], off
	v_add_co_u32_e32 v28, vcc, s7, v230
	v_mad_u64_u32 v[2:3], s[8:9], s12, v166, v[2:3]
	v_fma_f32 v7, v29, v40, -v7
	v_mul_f32_e32 v10, v31, v65
	v_mul_f32_e32 v11, v30, v65
	v_addc_co_u32_e32 v29, vcc, 0, v231, vcc
	global_load_dwordx2 v[68:69], v[28:29], off offset:1472
	v_add_u32_e32 v3, s2, v3
	v_fmac_f32_e32 v10, v30, v64
	v_fma_f32 v11, v31, v64, -v11
	global_load_dwordx2 v[30:31], v[2:3], off
	v_mad_u64_u32 v[2:3], s[8:9], s12, v166, v[2:3]
	v_accvgpr_write_b32 a40, v52
	v_accvgpr_write_b32 a32, v64
	v_add_u32_e32 v3, s2, v3
	v_accvgpr_write_b32 a41, v53
	v_accvgpr_write_b32 a33, v65
	global_load_dwordx2 v[32:33], v[2:3], off
	global_load_dwordx2 v[66:67], v[12:13], off offset:1728
	global_load_dwordx2 v[52:53], v[12:13], off offset:3296
	;; [unrolled: 1-line block ×3, first 2 shown]
	v_mad_u64_u32 v[2:3], s[8:9], s12, v166, v[2:3]
	v_add_u32_e32 v3, s2, v3
	global_load_dwordx2 v[12:13], v[2:3], off
	v_mad_u64_u32 v[2:3], s[8:9], s12, v34, v[2:3]
	v_add_u32_e32 v3, s6, v3
	v_fma_f32 v17, v35, v38, -v17
	global_load_dwordx2 v[34:35], v[2:3], off
	v_mad_u64_u32 v[2:3], s[6:7], s12, v166, v[2:3]
	v_accvgpr_write_b32 a56, v56
	s_waitcnt vmcnt(16)
	v_mul_f32_e32 v0, v9, v59
	v_mul_f32_e32 v1, v8, v59
	v_accvgpr_write_b32 a38, v58
	v_add_u32_e32 v3, s2, v3
	v_accvgpr_write_b32 a57, v57
	v_fmac_f32_e32 v0, v8, v58
	v_fma_f32 v1, v9, v58, -v1
	v_accvgpr_write_b32 a39, v59
	global_load_dwordx2 v[36:37], v[2:3], off
	global_load_dwordx2 v[56:57], v[28:29], off offset:3040
	global_load_dwordx2 v[58:59], v[22:23], off offset:2784
	v_mad_u64_u32 v[2:3], s[6:7], s12, v166, v[2:3]
	v_add_u32_e32 v3, s2, v3
	global_load_dwordx2 v[22:23], v[2:3], off
	v_mad_u64_u32 v[2:3], s[6:7], s12, v166, v[2:3]
	v_add_u32_e32 v3, s2, v3
	global_load_dwordx2 v[28:29], v[2:3], off
	v_mad_u64_u32 v[2:3], s[6:7], s12, v166, v[2:3]
	v_accvgpr_write_b32 a30, v38
	v_add_u32_e32 v3, s2, v3
	v_accvgpr_write_b32 a31, v39
	global_load_dwordx2 v[38:39], v[2:3], off
	v_mad_u64_u32 v[2:3], s[6:7], s12, v166, v[2:3]
	v_accvgpr_write_b32 a36, v40
	v_add_u32_e32 v3, s2, v3
	v_accvgpr_write_b32 a37, v41
	global_load_dwordx2 v[40:41], v[2:3], off
	v_mad_u64_u32 v[2:3], s[6:7], s12, v166, v[2:3]
	v_add_u32_e32 v3, s2, v3
	s_mov_b32 s2, 0xa000
	v_add_co_u32_e32 v74, vcc, s2, v230
	v_accvgpr_write_b32 a44, v54
	s_nop 0
	v_addc_co_u32_e32 v75, vcc, 0, v231, vcc
	v_accvgpr_write_b32 a45, v55
	global_load_dwordx2 v[2:3], v[2:3], off
	s_waitcnt vmcnt(21)
	v_mul_f32_e32 v8, v15, v71
	global_load_dwordx2 v[54:55], v[74:75], off offset:1376
	v_mul_f32_e32 v9, v14, v71
	v_fmac_f32_e32 v8, v14, v70
	v_fma_f32 v9, v15, v70, -v9
	s_waitcnt vmcnt(21)
	v_mul_f32_e32 v14, v19, v63
	v_mul_f32_e32 v15, v18, v63
	v_fmac_f32_e32 v14, v18, v62
	v_fma_f32 v15, v19, v62, -v15
	s_waitcnt vmcnt(19)
	v_mul_f32_e32 v18, v21, v73
	v_mul_f32_e32 v19, v20, v73
	v_fmac_f32_e32 v18, v20, v72
	v_fma_f32 v19, v21, v72, -v19
	v_add_u32_e32 v20, 0x1e00, v244
	ds_write2_b64 v20, v[4:5], v[18:19] offset0:20 offset1:216
	s_waitcnt vmcnt(18)
	v_mul_f32_e32 v4, v25, v61
	v_mul_f32_e32 v5, v24, v61
	v_fmac_f32_e32 v4, v24, v60
	v_fma_f32 v5, v25, v60, -v5
	v_add_u32_e32 v18, 0x3600, v244
	ds_write2_b64 v18, v[6:7], v[4:5] offset0:36 offset1:232
	;; [unrolled: 7-line block ×3, first 2 shown]
	s_waitcnt vmcnt(15)
	v_mul_f32_e32 v4, v31, v43
	v_mul_f32_e32 v5, v30, v43
	v_accvgpr_write_b32 a1, v6
	v_fmac_f32_e32 v4, v30, v42
	v_fma_f32 v5, v31, v42, -v5
	v_add_u32_e32 v6, 0x6800, v244
	ds_write2_b64 v6, v[16:17], v[4:5] offset0:4 offset1:200
	s_waitcnt vmcnt(13)
	v_mul_f32_e32 v4, v33, v67
	v_mul_f32_e32 v5, v32, v67
	v_accvgpr_write_b32 a3, v6
	v_fmac_f32_e32 v4, v32, v66
	v_fma_f32 v5, v33, v66, -v5
	v_add_u32_e32 v6, 0x8000, v244
	ds_write2_b64 v6, v[0:1], v[4:5] offset0:20 offset1:216
	s_waitcnt vmcnt(10)
	v_mul_f32_e32 v0, v13, v65
	v_mul_f32_e32 v1, v12, v65
	v_fmac_f32_e32 v0, v12, v64
	v_fma_f32 v1, v13, v64, -v1
	v_add_u32_e32 v4, 0x9800, v244
	ds_write2_b64 v4, v[8:9], v[0:1] offset0:36 offset1:232
	s_waitcnt vmcnt(9)
	v_mul_f32_e32 v0, v35, v45
	v_mul_f32_e32 v1, v34, v45
	v_accvgpr_write_b32 a62, v4
	v_fmac_f32_e32 v0, v34, v44
	v_fma_f32 v1, v35, v44, -v1
	v_add_u32_e32 v4, 0xc00, v244
	ds_write2_b64 v4, v[14:15], v[0:1] offset0:8 offset1:204
	s_waitcnt vmcnt(6)
	v_mul_f32_e32 v0, v37, v59
	v_mul_f32_e32 v1, v36, v59
	v_fmac_f32_e32 v0, v36, v58
	v_fma_f32 v1, v37, v58, -v1
	ds_write_b64 v244, v[0:1] offset:10976
	s_waitcnt vmcnt(5)
	v_mul_f32_e32 v0, v23, v47
	v_mul_f32_e32 v1, v22, v47
	v_fmac_f32_e32 v0, v22, v46
	v_fma_f32 v1, v23, v46, -v1
	ds_write_b64 v244, v[0:1] offset:17248
	;; [unrolled: 6-line block ×5, first 2 shown]
	v_accvgpr_write_b32 a24, v42
	v_accvgpr_write_b32 a18, v44
	s_waitcnt vmcnt(0)
	v_mul_f32_e32 v0, v3, v55
	v_mul_f32_e32 v1, v2, v55
	v_fmac_f32_e32 v0, v2, v54
	v_fma_f32 v1, v3, v54, -v1
	ds_write_b64 v244, v[0:1] offset:42336
	v_add_u32_e32 v0, 0x1800, v244
	s_waitcnt lgkmcnt(0)
	s_barrier
	ds_read2_b64 v[32:35], v0 offset0:16 offset1:212
	v_mov_b32_e32 v169, v0
	v_add_u32_e32 v0, 0x3000, v244
	v_accvgpr_write_b32 a25, v43
	v_accvgpr_write_b32 a19, v45
	v_accvgpr_write_b32 a8, v50
	v_accvgpr_write_b32 a6, v52
	ds_read2_b64 v[42:45], v0 offset0:32 offset1:228
	v_mov_b32_e32 v146, v0
	v_add_u32_e32 v0, 0x4800, v244
	v_accvgpr_write_b32 a10, v56
	v_accvgpr_write_b32 a9, v51
	v_accvgpr_write_b32 a7, v53
	v_accvgpr_write_b32 a4, v54
	;; [unrolled: 7-line block ×3, first 2 shown]
	ds_read2_b64 v[54:57], v0 offset1:196
	v_mov_b32_e32 v134, v0
	v_add_u32_e32 v0, 0x7a00, v244
	v_accvgpr_write_b32 a29, v61
	v_accvgpr_write_b32 a17, v59
	ds_read2_b64 v[58:61], v0 offset0:16 offset1:212
	v_mov_b32_e32 v135, v0
	v_add_u32_e32 v0, 0x9200, v244
	ds_read2_b64 v[36:39], v0 offset0:32 offset1:228
	ds_read2_b64 v[28:31], v244 offset1:196
	v_mov_b32_e32 v168, v4
	v_accvgpr_write_b32 a12, v46
	v_mov_b32_e32 v133, v0
	ds_read2_b64 v[0:3], v4 offset0:8 offset1:204
	v_add_u32_e32 v4, 0x2400, v244
	v_add_u32_e32 v8, 0x3c00, v244
	;; [unrolled: 1-line block ×6, first 2 shown]
	v_accvgpr_write_b32 a42, v62
	v_accvgpr_write_b32 a63, v20
	;; [unrolled: 1-line block ×5, first 2 shown]
	ds_read2_b64 v[20:23], v4 offset0:24 offset1:220
	v_mov_b32_e32 v162, v4
	ds_read2_b64 v[4:7], v8 offset0:40 offset1:236
	v_mov_b32_e32 v132, v8
	;; [unrolled: 2-line block ×6, first 2 shown]
	s_waitcnt lgkmcnt(8)
	v_add_f32_e32 v40, v32, v36
	v_add_f32_e32 v41, v33, v37
	v_sub_f32_e32 v32, v32, v36
	v_sub_f32_e32 v33, v33, v37
	v_add_f32_e32 v36, v42, v58
	v_add_f32_e32 v37, v43, v59
	v_sub_f32_e32 v42, v42, v58
	v_sub_f32_e32 v43, v43, v59
	v_add_f32_e32 v46, v50, v54
	v_sub_f32_e32 v49, v54, v50
	v_sub_f32_e32 v50, v55, v51
	v_accvgpr_write_b32 a43, v63
	v_add_f32_e32 v47, v51, v55
	v_add_f32_e32 v51, v34, v38
	;; [unrolled: 1-line block ×3, first 2 shown]
	v_sub_f32_e32 v55, v34, v38
	v_sub_f32_e32 v58, v35, v39
	v_add_f32_e32 v34, v36, v40
	v_add_f32_e32 v35, v37, v41
	v_sub_f32_e32 v38, v36, v40
	v_sub_f32_e32 v40, v40, v46
	;; [unrolled: 1-line block ×3, first 2 shown]
	v_add_f32_e32 v59, v49, v42
	v_add_f32_e32 v62, v50, v43
	v_sub_f32_e32 v63, v49, v42
	v_sub_f32_e32 v42, v42, v32
	;; [unrolled: 1-line block ×5, first 2 shown]
	v_add_f32_e32 v34, v46, v34
	v_sub_f32_e32 v46, v50, v43
	v_sub_f32_e32 v49, v32, v49
	;; [unrolled: 1-line block ×4, first 2 shown]
	v_add_f32_e32 v35, v47, v35
	v_add_f32_e32 v32, v59, v32
	v_add_f32_e32 v33, v62, v33
	v_mul_f32_e32 v40, 0x3f4a47b2, v40
	v_mul_f32_e32 v47, 0x3d64c772, v36
	s_mov_b32 s2, 0x3f3bfb3b
	s_mov_b32 s8, 0xbf3bfb3b
	v_mul_f32_e32 v59, 0xbf08b237, v63
	v_mul_f32_e32 v62, 0xbf5ff5aa, v42
	s_waitcnt lgkmcnt(7)
	v_add_f32_e32 v28, v28, v34
	v_add_f32_e32 v29, v29, v35
	v_fma_f32 v47, v38, s2, -v47
	v_fma_f32 v38, v38, s8, -v40
	v_fmac_f32_e32 v40, 0x3d64c772, v36
	v_mul_f32_e32 v36, 0x3d64c772, v37
	v_mul_f32_e32 v46, 0xbf08b237, v46
	v_fma_f32 v42, v42, s14, -v59
	v_fmac_f32_e32 v59, 0x3eae86e6, v49
	v_fmac_f32_e32 v62, 0xbeae86e6, v49
	v_mul_f32_e32 v49, 0xbf5ff5aa, v43
	v_accvgpr_write_b32 a20, v64
	v_fma_f32 v36, v39, s2, -v36
	v_fmamk_f32 v34, v34, 0xbf955555, v28
	v_fmamk_f32 v35, v35, 0xbf955555, v29
	v_fma_f32 v43, v43, s14, -v46
	v_fmac_f32_e32 v46, 0x3eae86e6, v50
	v_fmac_f32_e32 v49, 0xbeae86e6, v50
	v_accvgpr_write_b32 a21, v65
	v_mul_f32_e32 v41, 0x3f4a47b2, v41
	v_add_f32_e32 v50, v40, v34
	v_add_f32_e32 v47, v47, v34
	;; [unrolled: 1-line block ×4, first 2 shown]
	v_fmac_f32_e32 v46, 0x3ee1c552, v33
	v_fmac_f32_e32 v42, 0x3ee1c552, v32
	v_fmac_f32_e32 v43, 0x3ee1c552, v33
	v_fmac_f32_e32 v49, 0x3ee1c552, v33
	v_fma_f32 v39, v39, s8, -v41
	v_fmac_f32_e32 v41, 0x3d64c772, v37
	v_fmac_f32_e32 v59, 0x3ee1c552, v32
	;; [unrolled: 1-line block ×3, first 2 shown]
	v_add_f32_e32 v40, v50, v46
	v_sub_f32_e32 v36, v47, v43
	v_add_f32_e32 v37, v42, v64
	v_add_f32_e32 v32, v43, v47
	v_sub_f32_e32 v33, v64, v42
	v_add_f32_e32 v42, v49, v34
	v_sub_f32_e32 v38, v34, v49
	v_sub_f32_e32 v34, v50, v46
	v_add_f32_e32 v46, v44, v60
	v_add_f32_e32 v47, v45, v61
	;; [unrolled: 1-line block ×4, first 2 shown]
	v_sub_f32_e32 v44, v44, v60
	v_sub_f32_e32 v45, v45, v61
	v_add_f32_e32 v49, v52, v56
	v_add_f32_e32 v50, v53, v57
	v_sub_f32_e32 v52, v56, v52
	v_sub_f32_e32 v53, v57, v53
	v_add_f32_e32 v56, v46, v51
	v_add_f32_e32 v57, v47, v54
	;; [unrolled: 4-line block ×3, first 2 shown]
	v_sub_f32_e32 v59, v46, v51
	v_sub_f32_e32 v60, v47, v54
	;; [unrolled: 1-line block ×6, first 2 shown]
	v_add_f32_e32 v61, v52, v44
	v_add_f32_e32 v62, v53, v45
	v_sub_f32_e32 v63, v52, v44
	v_sub_f32_e32 v64, v53, v45
	;; [unrolled: 1-line block ×3, first 2 shown]
	v_add_f32_e32 v49, v49, v56
	v_add_f32_e32 v50, v50, v57
	v_sub_f32_e32 v52, v55, v52
	v_sub_f32_e32 v53, v58, v53
	;; [unrolled: 1-line block ×3, first 2 shown]
	v_add_f32_e32 v55, v61, v55
	v_add_f32_e32 v56, v62, v58
	;; [unrolled: 1-line block ×4, first 2 shown]
	v_mul_f32_e32 v51, 0x3f4a47b2, v51
	v_mul_f32_e32 v54, 0x3f4a47b2, v54
	;; [unrolled: 1-line block ×8, first 2 shown]
	v_fmamk_f32 v49, v49, 0xbf955555, v30
	v_fmamk_f32 v50, v50, 0xbf955555, v31
	v_fma_f32 v57, v59, s2, -v57
	v_fma_f32 v58, v60, s2, -v58
	;; [unrolled: 1-line block ×3, first 2 shown]
	v_fmac_f32_e32 v51, 0x3d64c772, v46
	v_fma_f32 v46, v60, s8, -v54
	v_fmac_f32_e32 v54, 0x3d64c772, v47
	v_fma_f32 v47, v44, s14, -v61
	v_fma_f32 v44, v45, s14, -v62
	v_fmac_f32_e32 v64, 0xbeae86e6, v53
	v_fmac_f32_e32 v61, 0x3eae86e6, v52
	;; [unrolled: 1-line block ×4, first 2 shown]
	v_add_f32_e32 v60, v51, v49
	v_add_f32_e32 v45, v57, v49
	;; [unrolled: 1-line block ×4, first 2 shown]
	v_fmac_f32_e32 v47, 0x3ee1c552, v55
	v_fmac_f32_e32 v44, 0x3ee1c552, v56
	v_fmac_f32_e32 v64, 0x3ee1c552, v56
	v_add_f32_e32 v65, v54, v50
	v_add_f32_e32 v46, v46, v50
	v_fmac_f32_e32 v61, 0x3ee1c552, v55
	v_fmac_f32_e32 v62, 0x3ee1c552, v56
	v_fmac_f32_e32 v63, 0x3ee1c552, v55
	v_add_f32_e32 v50, v64, v49
	v_sub_f32_e32 v54, v45, v44
	v_add_f32_e32 v55, v47, v52
	v_add_f32_e32 v44, v44, v45
	v_sub_f32_e32 v45, v52, v47
	v_sub_f32_e32 v52, v49, v64
	s_waitcnt lgkmcnt(0)
	v_add_f32_e32 v49, v20, v24
	v_add_f32_e32 v58, v21, v25
	v_sub_f32_e32 v20, v20, v24
	v_sub_f32_e32 v21, v21, v25
	v_add_f32_e32 v24, v4, v16
	v_add_f32_e32 v25, v5, v17
	v_sub_f32_e32 v4, v4, v16
	v_sub_f32_e32 v5, v5, v17
	;; [unrolled: 4-line block ×3, first 2 shown]
	v_add_f32_e32 v56, v60, v62
	v_sub_f32_e32 v57, v65, v61
	v_sub_f32_e32 v51, v46, v63
	v_add_f32_e32 v53, v63, v46
	v_sub_f32_e32 v46, v60, v62
	v_add_f32_e32 v47, v61, v65
	v_add_f32_e32 v59, v22, v26
	;; [unrolled: 1-line block ×3, first 2 shown]
	v_sub_f32_e32 v26, v22, v26
	v_sub_f32_e32 v27, v23, v27
	v_add_f32_e32 v12, v24, v49
	v_add_f32_e32 v13, v25, v58
	v_sub_f32_e32 v22, v24, v49
	v_sub_f32_e32 v23, v25, v58
	;; [unrolled: 1-line block ×5, first 2 shown]
	v_add_f32_e32 v61, v8, v4
	v_add_f32_e32 v62, v9, v5
	v_sub_f32_e32 v25, v17, v25
	v_sub_f32_e32 v63, v8, v4
	v_add_f32_e32 v12, v16, v12
	v_sub_f32_e32 v16, v9, v5
	v_sub_f32_e32 v8, v20, v8
	v_sub_f32_e32 v9, v21, v9
	v_sub_f32_e32 v4, v4, v20
	v_sub_f32_e32 v5, v5, v21
	v_add_f32_e32 v13, v17, v13
	v_add_f32_e32 v17, v61, v20
	;; [unrolled: 1-line block ×3, first 2 shown]
	v_mul_f32_e32 v21, 0x3f4a47b2, v49
	v_mul_f32_e32 v49, 0x3f4a47b2, v58
	;; [unrolled: 1-line block ×3, first 2 shown]
	v_add_f32_e32 v0, v0, v12
	v_fma_f32 v58, v22, s2, -v58
	v_fma_f32 v22, v22, s8, -v21
	v_fmac_f32_e32 v21, 0x3d64c772, v24
	v_mul_f32_e32 v24, 0x3d64c772, v25
	v_mul_f32_e32 v61, 0xbf08b237, v63
	;; [unrolled: 1-line block ×3, first 2 shown]
	v_fma_f32 v16, v23, s2, -v24
	v_fma_f32 v23, v23, s8, -v49
	v_fmac_f32_e32 v49, 0x3d64c772, v25
	v_mul_f32_e32 v24, 0xbf5ff5aa, v4
	v_fma_f32 v25, v4, s14, -v61
	v_mul_f32_e32 v63, 0xbf5ff5aa, v5
	v_fmamk_f32 v4, v12, 0xbf955555, v0
	v_add_f32_e32 v1, v1, v13
	v_fmac_f32_e32 v61, 0x3eae86e6, v8
	v_fmac_f32_e32 v24, 0xbeae86e6, v8
	v_fma_f32 v8, v5, s14, -v62
	v_fmac_f32_e32 v62, 0x3eae86e6, v9
	v_fmac_f32_e32 v63, 0xbeae86e6, v9
	v_add_f32_e32 v64, v21, v4
	v_add_f32_e32 v9, v58, v4
	;; [unrolled: 1-line block ×3, first 2 shown]
	v_fmamk_f32 v4, v13, 0xbf955555, v1
	v_add_f32_e32 v22, v23, v4
	v_fmac_f32_e32 v24, 0x3ee1c552, v17
	v_add_f32_e32 v12, v16, v4
	v_fmac_f32_e32 v61, 0x3ee1c552, v17
	v_fmac_f32_e32 v25, 0x3ee1c552, v17
	;; [unrolled: 1-line block ×3, first 2 shown]
	v_sub_f32_e32 v13, v22, v24
	v_add_f32_e32 v17, v24, v22
	v_add_f32_e32 v24, v6, v18
	;; [unrolled: 1-line block ×3, first 2 shown]
	v_fmac_f32_e32 v62, 0x3ee1c552, v20
	v_fmac_f32_e32 v63, 0x3ee1c552, v20
	v_sub_f32_e32 v4, v9, v8
	v_add_f32_e32 v5, v25, v12
	v_add_f32_e32 v8, v8, v9
	v_sub_f32_e32 v9, v12, v25
	v_add_f32_e32 v25, v7, v19
	v_sub_f32_e32 v6, v6, v18
	v_sub_f32_e32 v7, v7, v19
	v_add_f32_e32 v18, v10, v14
	v_add_f32_e32 v19, v11, v15
	v_sub_f32_e32 v10, v14, v10
	v_sub_f32_e32 v11, v15, v11
	v_add_f32_e32 v14, v24, v59
	v_add_f32_e32 v12, v63, v21
	v_sub_f32_e32 v16, v21, v63
	v_add_f32_e32 v20, v64, v62
	v_sub_f32_e32 v21, v49, v61
	v_sub_f32_e32 v22, v64, v62
	v_add_f32_e32 v23, v61, v49
	v_add_f32_e32 v15, v25, v60
	v_sub_f32_e32 v49, v24, v59
	v_sub_f32_e32 v59, v59, v18
	;; [unrolled: 1-line block ×3, first 2 shown]
	v_add_f32_e32 v61, v10, v6
	v_add_f32_e32 v62, v11, v7
	v_sub_f32_e32 v64, v11, v7
	v_sub_f32_e32 v7, v7, v27
	v_add_f32_e32 v14, v18, v14
	v_sub_f32_e32 v58, v25, v60
	v_sub_f32_e32 v60, v60, v19
	;; [unrolled: 1-line block ×7, first 2 shown]
	v_add_f32_e32 v15, v19, v15
	v_add_f32_e32 v18, v61, v26
	;; [unrolled: 1-line block ×4, first 2 shown]
	v_mul_f32_e32 v26, 0x3f4a47b2, v59
	v_mul_f32_e32 v59, 0x3d64c772, v24
	;; [unrolled: 1-line block ×4, first 2 shown]
	v_add_f32_e32 v3, v3, v15
	v_mul_f32_e32 v27, 0x3f4a47b2, v60
	v_fmamk_f32 v14, v14, 0xbf955555, v2
	v_fma_f32 v59, v49, s2, -v59
	v_fma_f32 v49, v49, s8, -v26
	v_fmac_f32_e32 v64, 0xbeae86e6, v11
	v_mul_f32_e32 v61, 0xbf08b237, v63
	v_mul_f32_e32 v63, 0xbf5ff5aa, v6
	v_fmamk_f32 v15, v15, 0xbf955555, v3
	v_fmac_f32_e32 v26, 0x3d64c772, v24
	v_fma_f32 v24, v58, s8, -v27
	v_add_f32_e32 v49, v49, v14
	v_fmac_f32_e32 v64, 0x3ee1c552, v19
	v_mul_f32_e32 v60, 0x3d64c772, v25
	v_fmac_f32_e32 v27, 0x3d64c772, v25
	v_fma_f32 v25, v6, s14, -v61
	v_fmac_f32_e32 v61, 0x3eae86e6, v10
	v_fmac_f32_e32 v63, 0xbeae86e6, v10
	v_add_f32_e32 v65, v24, v15
	v_add_f32_e32 v10, v64, v49
	v_sub_f32_e32 v24, v49, v64
	v_mul_lo_u16_e32 v49, 7, v184
	v_lshlrev_b32_e32 v49, 3, v49
	s_mov_b64 s[6:7], 0x188
	s_barrier
	ds_write2_b64 v49, v[28:29], v[40:41] offset1:1
	ds_write2_b64 v49, v[42:43], v[36:37] offset0:2 offset1:3
	ds_write2_b64 v49, v[32:33], v[38:39] offset0:4 offset1:5
	ds_write_b64 v49, v[34:35] offset:48
	v_mul_u32_u24_e32 v28, 7, v48
	v_lshl_add_u64 v[112:113], v[184:185], 0, s[6:7]
	v_lshlrev_b32_e32 v28, 3, v28
	s_mov_b64 s[6:7], 0x24c
	ds_write2_b64 v28, v[30:31], v[56:57] offset1:1
	ds_write2_b64 v28, v[50:51], v[54:55] offset0:2 offset1:3
	ds_write2_b64 v28, v[44:45], v[52:53] offset0:4 offset1:5
	ds_write_b64 v28, v[46:47] offset:48
	v_accvgpr_write_b32 a73, v28
	v_mul_u32_u24_e32 v28, 7, v112
	v_lshl_add_u64 v[114:115], v[184:185], 0, s[6:7]
	v_fma_f32 v60, v58, s2, -v60
	v_fma_f32 v58, v7, s14, -v62
	v_fmac_f32_e32 v62, 0x3eae86e6, v11
	v_lshlrev_b32_e32 v28, 3, v28
	v_add_f32_e32 v26, v26, v14
	v_add_f32_e32 v27, v27, v15
	v_fmac_f32_e32 v61, 0x3ee1c552, v18
	v_fmac_f32_e32 v62, 0x3ee1c552, v19
	ds_write2_b64 v28, v[0:1], v[20:21] offset1:1
	ds_write2_b64 v28, v[12:13], v[4:5] offset0:2 offset1:3
	ds_write2_b64 v28, v[8:9], v[16:17] offset0:4 offset1:5
	ds_write_b64 v28, v[22:23] offset:48
	v_mul_u32_u24_e32 v0, 7, v114
	v_add_f32_e32 v59, v59, v14
	v_add_f32_e32 v60, v60, v15
	v_fmac_f32_e32 v25, 0x3ee1c552, v18
	v_fmac_f32_e32 v58, 0x3ee1c552, v19
	;; [unrolled: 1-line block ×3, first 2 shown]
	v_add_f32_e32 v6, v26, v62
	v_sub_f32_e32 v7, v27, v61
	v_lshlrev_b32_e32 v0, 3, v0
	v_sub_f32_e32 v11, v65, v63
	v_sub_f32_e32 v14, v59, v58
	v_add_f32_e32 v15, v25, v60
	v_add_f32_e32 v18, v58, v59
	v_sub_f32_e32 v19, v60, v25
	v_add_f32_e32 v25, v63, v65
	v_sub_f32_e32 v26, v26, v62
	v_add_f32_e32 v27, v61, v27
	ds_write2_b64 v0, v[2:3], v[6:7] offset1:1
	ds_write2_b64 v0, v[10:11], v[14:15] offset0:2 offset1:3
	ds_write2_b64 v0, v[18:19], v[24:25] offset0:4 offset1:5
	ds_write_b64 v0, v[26:27] offset:48
	v_accvgpr_write_b32 a64, v0
	v_mov_b32_e32 v0, 37
	v_mul_lo_u16_sdwa v0, v184, v0 dst_sel:DWORD dst_unused:UNUSED_PAD src0_sel:BYTE_0 src1_sel:DWORD
	v_sub_u16_sdwa v1, v184, v0 dst_sel:DWORD dst_unused:UNUSED_PAD src0_sel:DWORD src1_sel:BYTE_1
	v_lshrrev_b16_e32 v1, 1, v1
	v_and_b32_e32 v1, 0x7f, v1
	v_add_u16_sdwa v0, v1, v0 dst_sel:DWORD dst_unused:UNUSED_PAD src0_sel:DWORD src1_sel:BYTE_1
	v_lshrrev_b16_e32 v23, 2, v0
	v_mul_lo_u16_e32 v0, 7, v23
	v_sub_u16_e32 v0, v184, v0
	v_accvgpr_write_b32 a65, v28
	v_and_b32_e32 v28, 0xff, v0
	v_mad_u64_u32 v[38:39], s[6:7], v28, 24, s[10:11]
	s_movk_i32 s6, 0x2493
	s_nop 0
	v_mul_u32_u24_sdwa v0, v48, s6 dst_sel:DWORD dst_unused:UNUSED_PAD src0_sel:WORD_0 src1_sel:DWORD
	v_sub_u16_sdwa v1, v48, v0 dst_sel:DWORD dst_unused:UNUSED_PAD src0_sel:DWORD src1_sel:WORD_1
	v_lshrrev_b16_e32 v1, 1, v1
	v_add_u16_sdwa v0, v1, v0 dst_sel:DWORD dst_unused:UNUSED_PAD src0_sel:DWORD src1_sel:WORD_1
	v_lshrrev_b16_e32 v15, 2, v0
	v_mul_lo_u16_e32 v0, 7, v15
	v_sub_u16_e32 v18, v48, v0
	v_mul_lo_u16_e32 v0, 24, v18
	v_mov_b32_e32 v1, v245
	v_lshl_add_u64 v[2:3], s[10:11], 0, v[0:1]
	v_mul_u32_u24_sdwa v0, v112, s6 dst_sel:DWORD dst_unused:UNUSED_PAD src0_sel:WORD_0 src1_sel:DWORD
	v_sub_u16_sdwa v1, v112, v0 dst_sel:DWORD dst_unused:UNUSED_PAD src0_sel:DWORD src1_sel:WORD_1
	v_lshrrev_b16_e32 v1, 1, v1
	v_add_u16_sdwa v0, v1, v0 dst_sel:DWORD dst_unused:UNUSED_PAD src0_sel:DWORD src1_sel:WORD_1
	v_lshrrev_b16_e32 v29, 2, v0
	v_mul_lo_u16_e32 v0, 7, v29
	v_sub_u16_e32 v30, v112, v0
	v_mul_lo_u16_e32 v0, 24, v30
	v_mov_b32_e32 v1, v245
	v_lshl_add_u64 v[4:5], s[10:11], 0, v[0:1]
	v_mul_u32_u24_sdwa v0, v114, s6 dst_sel:DWORD dst_unused:UNUSED_PAD src0_sel:WORD_0 src1_sel:DWORD
	v_sub_u16_sdwa v1, v114, v0 dst_sel:DWORD dst_unused:UNUSED_PAD src0_sel:DWORD src1_sel:WORD_1
	v_lshrrev_b16_e32 v1, 1, v1
	v_add_u16_sdwa v0, v1, v0 dst_sel:DWORD dst_unused:UNUSED_PAD src0_sel:DWORD src1_sel:WORD_1
	v_lshrrev_b16_e32 v16, 2, v0
	v_mul_lo_u16_e32 v0, 7, v16
	v_sub_u16_e32 v19, v114, v0
	v_mul_lo_u16_e32 v0, 24, v19
	v_mov_b32_e32 v1, v245
	v_add_u16_e32 v20, 0x310, v184
	v_lshl_add_u64 v[6:7], s[10:11], 0, v[0:1]
	v_mul_u32_u24_e32 v0, 0x2493, v20
	v_sub_u16_sdwa v1, v20, v0 dst_sel:DWORD dst_unused:UNUSED_PAD src0_sel:DWORD src1_sel:WORD_1
	v_lshrrev_b16_e32 v1, 1, v1
	v_add_u16_sdwa v0, v1, v0 dst_sel:DWORD dst_unused:UNUSED_PAD src0_sel:DWORD src1_sel:WORD_1
	v_lshrrev_b16_e32 v14, 2, v0
	v_mul_lo_u16_e32 v0, 7, v14
	v_sub_u16_e32 v17, v20, v0
	v_mul_lo_u16_e32 v0, 24, v17
	v_mov_b32_e32 v1, v245
	v_add_u16_e32 v21, 0x3d4, v184
	v_lshl_add_u64 v[8:9], s[10:11], 0, v[0:1]
	v_mul_u32_u24_e32 v0, 0x2493, v21
	s_waitcnt lgkmcnt(0)
	s_barrier
	global_load_dwordx4 v[204:207], v[38:39], off
	v_sub_u16_sdwa v1, v21, v0 dst_sel:DWORD dst_unused:UNUSED_PAD src0_sel:DWORD src1_sel:WORD_1
	global_load_dwordx4 v[214:217], v[2:3], off
	global_load_dwordx4 v[220:223], v[4:5], off
	v_lshrrev_b16_e32 v1, 1, v1
	v_add_u16_sdwa v0, v1, v0 dst_sel:DWORD dst_unused:UNUSED_PAD src0_sel:DWORD src1_sel:WORD_1
	v_lshrrev_b16_e32 v12, 2, v0
	v_mul_lo_u16_e32 v0, 7, v12
	v_sub_u16_e32 v13, v21, v0
	global_load_dwordx4 v[226:229], v[6:7], off
	global_load_dwordx4 v[210:213], v[8:9], off
	v_mul_lo_u16_e32 v0, 24, v13
	v_mov_b32_e32 v1, v245
	v_lshl_add_u64 v[10:11], s[10:11], 0, v[0:1]
	global_load_dwordx4 v[232:235], v[10:11], off
	ds_read2_b64 v[24:27], v142 offset0:56 offset1:252
	ds_read2_b64 v[34:37], v134 offset1:196
	v_accvgpr_write_b32 a78, v49
	ds_read2_b64 v[52:55], v136 offset0:48 offset1:244
	v_accvgpr_write_b32 a26, v68
	v_accvgpr_write_b32 a27, v69
	;; [unrolled: 1-line block ×9, first 2 shown]
	v_mul_u32_u24_e32 v23, 28, v23
	v_accvgpr_write_b32 a23, v67
	v_add_lshl_u32 v23, v23, v28, 3
	v_mad_legacy_u16 v14, v14, 28, v17
	v_lshlrev_b32_e32 v14, 3, v14
	v_mad_legacy_u16 v12, v12, 28, v13
	v_lshlrev_b32_e32 v12, 3, v12
	v_accvgpr_write_b32 a90, v23
	v_lshrrev_b16_e32 v113, 2, v112
	v_accvgpr_write_b32 a95, v14
	s_mov_b32 s12, 0x3f955555
	s_waitcnt vmcnt(5) lgkmcnt(2)
	v_mul_f32_e32 v0, v25, v207
	v_fma_f32 v47, v24, v206, -v0
	v_mul_f32_e32 v49, v24, v207
	s_waitcnt vmcnt(4)
	v_mul_f32_e32 v0, v27, v217
	v_mul_f32_e32 v1, v26, v217
	v_fmac_f32_e32 v49, v25, v206
	v_fma_f32 v0, v26, v216, -v0
	v_fmac_f32_e32 v1, v27, v216
	ds_read2_b64 v[24:27], v131 offset0:8 offset1:204
	s_waitcnt vmcnt(3) lgkmcnt(2)
	v_mul_f32_e32 v22, v35, v223
	v_fma_f32 v43, v34, v222, -v22
	v_mul_f32_e32 v44, v34, v223
	s_waitcnt vmcnt(2)
	v_mul_f32_e32 v22, v37, v229
	v_fmac_f32_e32 v44, v35, v222
	v_fma_f32 v35, v36, v228, -v22
	s_waitcnt vmcnt(1) lgkmcnt(0)
	v_mul_f32_e32 v22, v25, v213
	v_fma_f32 v33, v24, v212, -v22
	s_waitcnt vmcnt(0)
	v_mul_f32_e32 v22, v27, v235
	v_mul_f32_e32 v32, v26, v235
	v_fma_f32 v31, v26, v234, -v22
	v_fmac_f32_e32 v32, v27, v234
	global_load_dwordx2 v[26:27], v[38:39], off offset:16
	v_add_u16_e32 v22, 0x498, v184
	v_mul_f32_e32 v34, v24, v213
	v_mul_u32_u24_e32 v24, 0x2493, v22
	ds_read2_b64 v[38:41], v135 offset0:16 offset1:212
	v_fmac_f32_e32 v34, v25, v212
	v_sub_u16_sdwa v25, v22, v24 dst_sel:DWORD dst_unused:UNUSED_PAD src0_sel:DWORD src1_sel:WORD_1
	v_lshrrev_b16_e32 v25, 1, v25
	v_mul_f32_e32 v36, v36, v229
	v_add_u16_sdwa v24, v25, v24 dst_sel:DWORD dst_unused:UNUSED_PAD src0_sel:DWORD src1_sel:WORD_1
	v_fmac_f32_e32 v36, v37, v228
	v_lshrrev_b16_e32 v37, 2, v24
	v_mul_lo_u16_e32 v24, 7, v37
	v_mul_f32_e32 v46, v52, v233
	v_fmac_f32_e32 v46, v53, v232
	s_waitcnt vmcnt(0) lgkmcnt(0)
	v_mul_f32_e32 v25, v41, v27
	v_fma_f32 v50, v40, v26, -v25
	v_mul_f32_e32 v51, v40, v27
	v_sub_u16_e32 v40, v22, v24
	v_mul_lo_u16_e32 v24, 24, v40
	v_mov_b32_e32 v25, v245
	v_lshl_add_u64 v[56:57], s[10:11], 0, v[24:25]
	global_load_dwordx4 v[194:197], v[56:57], off
	v_fmac_f32_e32 v51, v41, v26
	v_accvgpr_write_b32 a67, v27
	v_accvgpr_write_b32 a66, v26
	s_waitcnt vmcnt(0)
	v_mul_f32_e32 v24, v39, v197
	v_fma_f32 v41, v38, v196, -v24
	v_mul_f32_e32 v24, v55, v195
	v_mul_f32_e32 v42, v38, v197
	v_fma_f32 v38, v54, v194, -v24
	v_mul_f32_e32 v24, v53, v233
	v_fma_f32 v45, v52, v232, -v24
	global_load_dwordx2 v[24:25], v[56:57], off offset:16
	global_load_dwordx2 v[26:27], v[10:11], off offset:16
	v_fmac_f32_e32 v42, v39, v196
	v_mul_f32_e32 v39, v54, v195
	v_fmac_f32_e32 v39, v55, v194
	ds_read2_b64 v[54:57], v130 offset0:40 offset1:236
	s_waitcnt vmcnt(1) lgkmcnt(0)
	v_mul_f32_e32 v10, v57, v25
	v_mul_f32_e32 v11, v56, v25
	v_accvgpr_write_b32 a75, v25
	v_fma_f32 v10, v56, v24, -v10
	v_fmac_f32_e32 v11, v57, v24
	v_accvgpr_write_b32 a74, v24
	s_waitcnt vmcnt(0)
	v_mul_f32_e32 v24, v55, v27
	v_mul_f32_e32 v53, v54, v27
	v_fma_f32 v52, v54, v26, -v24
	v_fmac_f32_e32 v53, v55, v26
	ds_read2_b64 v[54:57], v132 offset0:40 offset1:236
	v_accvgpr_write_b32 a77, v27
	v_accvgpr_write_b32 a76, v26
	s_waitcnt lgkmcnt(0)
	v_mul_f32_e32 v24, v57, v211
	v_mul_f32_e32 v25, v56, v211
	v_fma_f32 v24, v56, v210, -v24
	v_fmac_f32_e32 v25, v57, v210
	global_load_dwordx2 v[56:57], v[8:9], off offset:16
	global_load_dwordx2 v[58:59], v[6:7], off offset:16
	ds_read2_b64 v[6:9], v133 offset0:32 offset1:228
	v_mul_f32_e32 v26, v55, v227
	v_fma_f32 v26, v54, v226, -v26
	v_mul_f32_e32 v27, v54, v227
	v_fmac_f32_e32 v27, v55, v226
	s_waitcnt vmcnt(1) lgkmcnt(0)
	v_mul_f32_e32 v54, v9, v57
	v_mul_f32_e32 v69, v8, v57
	v_accvgpr_write_b32 a81, v57
	v_fma_f32 v68, v8, v56, -v54
	v_fmac_f32_e32 v69, v9, v56
	v_accvgpr_write_b32 a80, v56
	ds_read2_b64 v[54:57], v146 offset0:32 offset1:228
	s_waitcnt vmcnt(0)
	v_mul_f32_e32 v8, v7, v59
	v_fma_f32 v70, v6, v58, -v8
	v_mul_f32_e32 v71, v6, v59
	v_fmac_f32_e32 v71, v7, v58
	s_waitcnt lgkmcnt(0)
	v_mul_f32_e32 v6, v57, v221
	v_fma_f32 v72, v56, v220, -v6
	v_mul_f32_e32 v6, v55, v215
	v_mul_f32_e32 v73, v56, v221
	v_fma_f32 v7, v54, v214, -v6
	v_mul_f32_e32 v6, v54, v215
	v_fmac_f32_e32 v73, v57, v220
	v_fmac_f32_e32 v6, v55, v214
	global_load_dwordx2 v[54:55], v[4:5], off offset:16
	global_load_dwordx2 v[56:57], v[2:3], off offset:16
	ds_read2_b64 v[2:5], v154 offset0:24 offset1:220
	v_accvgpr_write_b32 a83, v59
	v_accvgpr_write_b32 a82, v58
	s_waitcnt vmcnt(1) lgkmcnt(0)
	v_mul_f32_e32 v8, v5, v55
	v_fma_f32 v74, v4, v54, -v8
	v_mul_f32_e32 v75, v4, v55
	s_waitcnt vmcnt(0)
	v_mul_f32_e32 v4, v3, v57
	v_mul_f32_e32 v8, v2, v57
	v_fmac_f32_e32 v75, v5, v54
	v_fma_f32 v9, v2, v56, -v4
	v_fmac_f32_e32 v8, v3, v56
	ds_read2_b64 v[2:5], v162 offset0:24 offset1:220
	v_accvgpr_write_b32 a87, v55
	v_accvgpr_write_b32 a86, v54
	;; [unrolled: 1-line block ×4, first 2 shown]
	s_waitcnt lgkmcnt(0)
	v_mul_f32_e32 v54, v5, v205
	v_fma_f32 v58, v4, v204, -v54
	ds_read2_b64 v[54:57], v244 offset1:196
	v_mul_f32_e32 v4, v4, v205
	v_fmac_f32_e32 v4, v5, v204
	v_sub_f32_e32 v59, v58, v50
	v_sub_f32_e32 v60, v4, v51
	s_waitcnt lgkmcnt(0)
	v_sub_f32_e32 v47, v54, v47
	v_sub_f32_e32 v49, v55, v49
	v_fma_f32 v5, v58, 2.0, -v59
	v_fma_f32 v50, v4, 2.0, -v60
	;; [unrolled: 1-line block ×4, first 2 shown]
	v_sub_f32_e32 v4, v51, v5
	v_sub_f32_e32 v5, v54, v50
	v_fma_f32 v50, v51, 2.0, -v4
	v_fma_f32 v51, v54, 2.0, -v5
	v_sub_f32_e32 v54, v47, v60
	v_add_f32_e32 v55, v49, v59
	v_fma_f32 v66, v47, 2.0, -v54
	v_fma_f32 v67, v49, 2.0, -v55
	v_pk_add_f32 v[0:1], v[56:57], v[0:1] neg_lo:[0,1] neg_hi:[0,1]
	v_pk_add_f32 v[8:9], v[6:7], v[8:9] neg_lo:[0,1] neg_hi:[0,1]
	ds_read2_b64 v[58:61], v168 offset0:8 offset1:204
	ds_read2_b64 v[62:65], v169 offset0:16 offset1:212
	s_waitcnt lgkmcnt(0)
	s_barrier
	ds_write2_b64 v23, v[50:51], v[66:67] offset1:7
	ds_write2_b64 v23, v[4:5], v[54:55] offset0:14 offset1:21
	v_fma_f32 v50, v7, 2.0, -v9
	v_fma_f32 v51, v6, 2.0, -v8
	v_pk_add_f32 v[6:7], v[0:1], v[8:9] neg_lo:[0,1] neg_hi:[0,1]
	v_pk_add_f32 v[8:9], v[0:1], v[8:9]
	v_pk_fma_f32 v[4:5], v[56:57], 2.0, v[0:1] op_sel_hi:[1,0,1] neg_lo:[0,0,1] neg_hi:[0,0,1]
	v_mad_legacy_u16 v8, v15, 28, v18
	v_mov_b32_e32 v7, v9
	v_lshlrev_b32_e32 v15, 3, v8
	v_pk_add_f32 v[8:9], v[4:5], v[50:51] neg_lo:[0,1] neg_hi:[0,1]
	v_pk_fma_f32 v[0:1], v[0:1], 2.0, v[6:7] op_sel_hi:[1,0,1] neg_lo:[0,0,1] neg_hi:[0,0,1]
	v_pk_fma_f32 v[4:5], v[4:5], 2.0, v[8:9] op_sel_hi:[1,0,1] neg_lo:[0,0,1] neg_hi:[0,0,1]
	ds_write2_b64 v15, v[4:5], v[0:1] offset1:7
	ds_write2_b64 v15, v[8:9], v[6:7] offset0:14 offset1:21
	v_sub_f32_e32 v8, v58, v43
	v_sub_f32_e32 v9, v59, v44
	;; [unrolled: 1-line block ×4, first 2 shown]
	v_fma_f32 v0, v72, 2.0, -v7
	v_fma_f32 v1, v73, 2.0, -v6
	;; [unrolled: 1-line block ×4, first 2 shown]
	v_accvgpr_write_b32 a92, v15
	v_mad_legacy_u16 v15, v29, 28, v30
	v_sub_f32_e32 v0, v4, v0
	v_sub_f32_e32 v1, v5, v1
	;; [unrolled: 1-line block ×3, first 2 shown]
	v_add_f32_e32 v7, v9, v7
	v_fma_f32 v4, v4, 2.0, -v0
	v_fma_f32 v5, v5, 2.0, -v1
	;; [unrolled: 1-line block ×4, first 2 shown]
	v_lshlrev_b32_e32 v15, 3, v15
	ds_write2_b64 v15, v[4:5], v[8:9] offset1:7
	ds_write2_b64 v15, v[0:1], v[6:7] offset0:14 offset1:21
	v_sub_f32_e32 v8, v60, v35
	v_sub_f32_e32 v9, v61, v36
	;; [unrolled: 1-line block ×4, first 2 shown]
	v_fma_f32 v4, v60, 2.0, -v8
	v_fma_f32 v5, v61, 2.0, -v9
	;; [unrolled: 1-line block ×4, first 2 shown]
	v_accvgpr_write_b32 a91, v15
	v_mad_legacy_u16 v15, v16, 28, v19
	v_sub_f32_e32 v0, v4, v0
	v_sub_f32_e32 v1, v5, v1
	;; [unrolled: 1-line block ×3, first 2 shown]
	v_add_f32_e32 v7, v9, v7
	v_fma_f32 v4, v4, 2.0, -v0
	v_fma_f32 v5, v5, 2.0, -v1
	;; [unrolled: 1-line block ×4, first 2 shown]
	v_lshlrev_b32_e32 v15, 3, v15
	ds_write2_b64 v15, v[4:5], v[8:9] offset1:7
	ds_write2_b64 v15, v[0:1], v[6:7] offset0:14 offset1:21
	v_sub_f32_e32 v8, v62, v33
	v_sub_f32_e32 v9, v63, v34
	;; [unrolled: 1-line block ×4, first 2 shown]
	v_fma_f32 v0, v24, 2.0, -v7
	v_fma_f32 v1, v25, 2.0, -v6
	;; [unrolled: 1-line block ×4, first 2 shown]
	v_sub_f32_e32 v0, v4, v0
	v_sub_f32_e32 v1, v5, v1
	;; [unrolled: 1-line block ×3, first 2 shown]
	v_add_f32_e32 v7, v9, v7
	v_fma_f32 v4, v4, 2.0, -v0
	v_fma_f32 v5, v5, 2.0, -v1
	v_fma_f32 v8, v8, 2.0, -v6
	v_fma_f32 v9, v9, 2.0, -v7
	ds_write2_b64 v14, v[4:5], v[8:9] offset1:7
	ds_write2_b64 v14, v[0:1], v[6:7] offset0:14 offset1:21
	v_sub_f32_e32 v8, v64, v31
	v_sub_f32_e32 v9, v65, v32
	;; [unrolled: 1-line block ×4, first 2 shown]
	v_fma_f32 v4, v64, 2.0, -v8
	v_fma_f32 v5, v65, 2.0, -v9
	;; [unrolled: 1-line block ×4, first 2 shown]
	v_sub_f32_e32 v0, v4, v0
	v_sub_f32_e32 v1, v5, v1
	;; [unrolled: 1-line block ×3, first 2 shown]
	v_add_f32_e32 v7, v9, v7
	v_fma_f32 v4, v4, 2.0, -v0
	v_fma_f32 v5, v5, 2.0, -v1
	;; [unrolled: 1-line block ×4, first 2 shown]
	ds_write2_b64 v12, v[4:5], v[8:9] offset1:7
	v_mov_b32_e32 v5, v12
	v_lshrrev_b16_e32 v23, 2, v114
	ds_write2_b64 v5, v[0:1], v[6:7] offset0:14 offset1:21
	v_mul_u32_u24_e32 v0, 0x4925, v23
	v_mad_legacy_u16 v4, v37, 28, v40
	v_lshrrev_b32_e32 v115, 17, v0
	v_sub_f32_e32 v8, v2, v41
	v_sub_f32_e32 v9, v3, v42
	v_lshlrev_b32_e32 v12, 3, v4
	v_accvgpr_write_b32 a98, v5
	v_mul_lo_u16_e32 v0, 28, v115
	v_sub_f32_e32 v5, v38, v10
	v_sub_f32_e32 v4, v39, v11
	v_fma_f32 v2, v2, 2.0, -v8
	v_fma_f32 v3, v3, 2.0, -v9
	v_sub_u16_e32 v122, v114, v0
	v_fma_f32 v0, v38, 2.0, -v5
	v_fma_f32 v1, v39, 2.0, -v4
	v_sub_f32_e32 v4, v8, v4
	v_add_f32_e32 v5, v9, v5
	v_sub_f32_e32 v0, v2, v0
	v_sub_f32_e32 v1, v3, v1
	v_fma_f32 v6, v8, 2.0, -v4
	v_fma_f32 v7, v9, 2.0, -v5
	v_mul_lo_u16_e32 v8, 48, v122
	v_mov_b32_e32 v9, v245
	v_fma_f32 v2, v2, 2.0, -v0
	v_fma_f32 v3, v3, 2.0, -v1
	v_lshl_add_u64 v[8:9], s[10:11], 0, v[8:9]
	ds_write2_b64 v12, v[2:3], v[6:7] offset1:7
	ds_write2_b64 v12, v[0:1], v[4:5] offset0:14 offset1:21
	s_waitcnt lgkmcnt(0)
	s_barrier
	global_load_dwordx4 v[180:183], v[8:9], off offset:168
	global_load_dwordx4 v[36:39], v[8:9], off offset:184
	ds_read2_b64 v[70:73], v142 offset0:56 offset1:252
	global_load_dwordx4 v[248:251], v[8:9], off offset:200
	ds_read2_b64 v[6:9], v132 offset0:40 offset1:236
	v_accvgpr_write_b32 a93, v15
	v_accvgpr_write_b32 a94, v12
	s_waitcnt lgkmcnt(1)
	v_mov_b32_e32 v3, v72
	s_waitcnt lgkmcnt(0)
	v_mov_b32_e32 v2, v8
	s_waitcnt vmcnt(2)
	v_mov_b32_e32 v0, v183
	s_waitcnt vmcnt(1)
	v_mov_b32_e32 v1, v36
	v_pk_mul_f32 v[2:3], v[2:3], v[0:1]
	v_mul_f32_e32 v0, v9, v183
	v_fma_f32 v61, v8, v182, -v0
	v_mov_b32_e32 v8, v73
	v_mov_b32_e32 v0, v37
	v_pk_fma_f32 v[0:1], v[8:9], v[0:1], v[2:3] op_sel:[0,0,1] op_sel_hi:[1,1,0] neg_lo:[1,0,0] neg_hi:[1,0,0]
	v_mov_b32_e32 v4, v37
	v_mul_u32_u24_e32 v1, 0x4925, v113
	v_mov_b32_e32 v5, v182
	v_lshrrev_b32_e32 v1, 17, v1
	v_pk_fma_f32 v[116:117], v[8:9], v[4:5], v[2:3] op_sel:[0,0,1] op_sel_hi:[1,1,0]
	v_mul_lo_u16_e32 v2, 28, v1
	v_sub_u16_e32 v60, v112, v2
	v_mul_lo_u16_e32 v2, 48, v60
	v_mov_b32_e32 v3, v245
	v_lshl_add_u64 v[14:15], s[10:11], 0, v[2:3]
	global_load_dwordx4 v[40:43], v[14:15], off offset:168
	global_load_dwordx4 v[44:47], v[14:15], off offset:184
	v_mov_b32_e32 v4, v6
	v_mov_b32_e32 v5, v70
	v_mad_legacy_u16 v1, v1, s22, v60
	v_lshlrev_b32_e32 v185, 3, v1
	v_mov_b32_e32 v190, v180
	v_mov_b32_e32 v191, v36
	v_mov_b32_e32 v60, v117
	s_waitcnt vmcnt(1)
	v_mov_b32_e32 v2, v43
	s_waitcnt vmcnt(0)
	v_mov_b32_e32 v3, v44
	v_pk_mul_f32 v[8:9], v[4:5], v[2:3]
	v_mul_f32_e32 v2, v7, v43
	v_fma_f32 v5, v6, v42, -v2
	v_mov_b32_e32 v6, v71
	v_mov_b32_e32 v2, v45
	v_pk_fma_f32 v[2:3], v[6:7], v[2:3], v[8:9] op_sel:[0,0,1] op_sel_hi:[1,1,0] neg_lo:[1,0,0] neg_hi:[1,0,0]
	v_mov_b32_e32 v10, v45
	v_lshrrev_b16_e32 v3, 2, v48
	v_mul_u32_u24_e32 v3, 0x4925, v3
	v_lshrrev_b32_e32 v3, 17, v3
	v_mul_lo_u16_e32 v4, 28, v3
	v_mov_b32_e32 v11, v42
	v_sub_u16_e32 v4, v48, v4
	v_pk_fma_f32 v[6:7], v[6:7], v[10:11], v[8:9] op_sel:[0,0,1] op_sel_hi:[1,1,0]
	v_mul_lo_u16_e32 v8, 48, v4
	v_mov_b32_e32 v9, v245
	v_lshl_add_u64 v[8:9], s[10:11], 0, v[8:9]
	global_load_dwordx4 v[52:55], v[8:9], off offset:168
	global_load_dwordx4 v[56:59], v[8:9], off offset:184
	;; [unrolled: 1-line block ×3, first 2 shown]
	ds_read2_b64 v[16:19], v146 offset0:32 offset1:228
	ds_read2_b64 v[74:77], v136 offset0:48 offset1:244
	v_mad_legacy_u16 v3, v3, s22, v4
	v_lshlrev_b32_e32 v3, 3, v3
	v_mov_b32_e32 v4, v7
	s_waitcnt lgkmcnt(1)
	v_mov_b32_e32 v10, v18
	s_waitcnt lgkmcnt(0)
	v_mov_b32_e32 v11, v76
	v_mov_b32_e32 v119, v76
	s_waitcnt vmcnt(2)
	v_mov_b32_e32 v8, v55
	s_waitcnt vmcnt(1)
	v_mov_b32_e32 v9, v56
	v_mul_f32_e32 v6, v19, v55
	v_pk_mul_f32 v[12:13], v[10:11], v[8:9]
	v_fma_f32 v11, v18, v54, -v6
	v_mov_b32_e32 v18, v77
	v_mov_b32_e32 v6, v57
	v_pk_fma_f32 v[8:9], v[18:19], v[6:7], v[12:13] op_sel:[0,0,1] op_sel_hi:[1,1,0] neg_lo:[1,0,0] neg_hi:[1,0,0]
	v_mov_b32_e32 v6, 2
	v_lshrrev_b16_sdwa v6, v6, v184 dst_sel:DWORD dst_unused:UNUSED_PAD src0_sel:DWORD src1_sel:BYTE_0
	v_mul_lo_u16_e32 v6, 37, v6
	v_mov_b32_e32 v9, 28
	v_mul_lo_u16_sdwa v9, v6, v9 dst_sel:DWORD dst_unused:UNUSED_PAD src0_sel:BYTE_1 src1_sel:DWORD
	v_sub_u16_e32 v9, v184, v9
	v_and_b32_e32 v9, 0xff, v9
	v_mov_b32_e32 v62, v57
	v_mov_b32_e32 v63, v54
	v_mad_u64_u32 v[84:85], s[6:7], v9, 48, s[10:11]
	v_pk_fma_f32 v[12:13], v[18:19], v[62:63], v[12:13] op_sel:[0,0,1] op_sel_hi:[1,1,0]
	global_load_dwordx4 v[66:69], v[84:85], off offset:168
	global_load_dwordx4 v[62:65], v[84:85], off offset:184
	ds_read2_b64 v[78:81], v169 offset0:16 offset1:212
	v_mul_u32_u24_sdwa v6, v6, s22 dst_sel:DWORD dst_unused:UNUSED_PAD src0_sel:BYTE_1 src1_sel:DWORD
	v_add_lshl_u32 v125, v6, v9, 3
	ds_read2_b64 v[88:91], v133 offset0:32 offset1:228
	s_waitcnt lgkmcnt(1)
	v_mov_b32_e32 v18, v80
	v_mov_b32_e32 v118, v81
	s_waitcnt vmcnt(1)
	v_mul_f32_e32 v10, v17, v69
	s_waitcnt vmcnt(0)
	v_mul_f32_e32 v19, v75, v63
	v_mul_f32_e32 v26, v74, v63
	v_fma_f32 v25, v74, v62, -v19
	v_fmac_f32_e32 v26, v75, v62
	v_mov_b32_e32 v19, v77
	global_load_dwordx4 v[74:77], v[84:85], off offset:200
	v_fma_f32 v10, v16, v68, -v10
	v_mul_f32_e32 v12, v16, v69
	v_mul_f32_e32 v16, v80, v53
	v_fmac_f32_e32 v16, v81, v52
	ds_read2_b64 v[80:83], v134 offset1:196
	v_fmac_f32_e32 v12, v17, v68
	v_mul_f32_e32 v17, v79, v67
	v_mul_f32_e32 v24, v78, v67
	v_fma_f32 v17, v78, v66, -v17
	s_waitcnt lgkmcnt(0)
	v_mul_f32_e32 v6, v81, v65
	v_fma_f32 v6, v80, v64, -v6
	v_add_f32_e32 v9, v25, v6
	v_sub_f32_e32 v6, v6, v25
	v_mul_f32_e32 v25, v80, v65
	v_fmac_f32_e32 v24, v79, v66
	v_fmac_f32_e32 v25, v81, v64
	global_load_dwordx4 v[78:81], v[14:15], off offset:200
	v_add_f32_e32 v27, v26, v25
	v_sub_f32_e32 v25, v25, v26
	s_waitcnt vmcnt(1)
	v_mul_f32_e32 v26, v89, v77
	v_fma_f32 v26, v88, v76, -v26
	v_add_f32_e32 v28, v17, v26
	v_sub_f32_e32 v17, v17, v26
	v_mul_f32_e32 v26, v88, v77
	v_fmac_f32_e32 v26, v89, v76
	ds_read2_b64 v[86:89], v135 offset0:16 offset1:212
	v_add_f32_e32 v29, v24, v26
	v_sub_f32_e32 v24, v24, v26
	s_waitcnt lgkmcnt(0)
	v_mul_f32_e32 v26, v87, v75
	v_fma_f32 v26, v86, v74, -v26
	v_add_f32_e32 v30, v10, v26
	v_sub_f32_e32 v10, v10, v26
	v_mul_f32_e32 v26, v86, v75
	v_fmac_f32_e32 v26, v87, v74
	v_add_f32_e32 v31, v12, v26
	v_sub_f32_e32 v12, v12, v26
	v_add_f32_e32 v26, v30, v28
	ds_read2_b64 v[84:87], v244 offset1:196
	v_sub_f32_e32 v32, v30, v28
	v_sub_f32_e32 v28, v28, v9
	v_sub_f32_e32 v30, v9, v30
	v_add_f32_e32 v9, v9, v26
	v_add_f32_e32 v26, v31, v29
	v_sub_f32_e32 v33, v31, v29
	v_sub_f32_e32 v29, v29, v27
	v_sub_f32_e32 v31, v27, v31
	v_add_f32_e32 v26, v27, v26
	v_add_f32_e32 v27, v6, v10
	v_sub_f32_e32 v34, v6, v10
	v_sub_f32_e32 v6, v17, v6
	v_sub_f32_e32 v10, v10, v17
	v_add_f32_e32 v17, v27, v17
	v_add_f32_e32 v27, v25, v12
	v_sub_f32_e32 v35, v25, v12
	v_sub_f32_e32 v25, v24, v25
	;; [unrolled: 1-line block ×3, first 2 shown]
	v_add_f32_e32 v24, v27, v24
	v_mul_f32_e32 v27, 0x3f4a47b2, v28
	v_mul_f32_e32 v28, 0x3f4a47b2, v29
	;; [unrolled: 1-line block ×3, first 2 shown]
	s_waitcnt lgkmcnt(0)
	v_add_f32_e32 v84, v84, v9
	v_add_f32_e32 v85, v85, v26
	v_mul_f32_e32 v34, 0xbf08b237, v35
	v_fma_f32 v123, v10, s14, -v29
	v_mul_f32_e32 v10, 0xbf5ff5aa, v10
	v_fmamk_f32 v9, v9, 0xbf955555, v84
	v_fmamk_f32 v26, v26, 0xbf955555, v85
	v_fma_f32 v35, v32, s8, -v27
	v_fmac_f32_e32 v27, 0x3d64c772, v30
	v_fma_f32 v116, v33, s8, -v28
	v_fmac_f32_e32 v28, 0x3d64c772, v31
	v_fmac_f32_e32 v29, 0x3eae86e6, v6
	v_fma_f32 v124, v12, s14, -v34
	v_fmac_f32_e32 v34, 0x3eae86e6, v25
	v_mul_f32_e32 v14, 0x3d64c772, v30
	v_mul_f32_e32 v15, 0x3d64c772, v31
	v_fmac_f32_e32 v10, 0xbeae86e6, v6
	v_mul_f32_e32 v6, 0xbf5ff5aa, v12
	v_add_f32_e32 v27, v27, v9
	v_add_f32_e32 v28, v28, v26
	v_fmac_f32_e32 v29, 0x3ee1c552, v17
	v_fmac_f32_e32 v34, 0x3ee1c552, v24
	v_fma_f32 v14, v32, s2, -v14
	v_fma_f32 v15, v33, s2, -v15
	v_fmac_f32_e32 v6, 0xbeae86e6, v25
	v_add_f32_e32 v120, v34, v27
	v_sub_f32_e32 v121, v28, v29
	v_add_f32_e32 v12, v14, v9
	v_add_f32_e32 v9, v35, v9
	;; [unrolled: 1-line block ×4, first 2 shown]
	v_fmac_f32_e32 v123, 0x3ee1c552, v17
	v_fmac_f32_e32 v10, 0x3ee1c552, v17
	;; [unrolled: 1-line block ×4, first 2 shown]
	ds_read2_b64 v[108:111], v162 offset0:24 offset1:220
	ds_read2_b64 v[96:99], v131 offset0:8 offset1:204
	;; [unrolled: 1-line block ×5, first 2 shown]
	s_waitcnt lgkmcnt(0)
	s_barrier
	ds_write2_b64 v125, v[84:85], v[120:121] offset1:28
	v_add_f32_e32 v14, v6, v9
	v_sub_f32_e32 v15, v26, v10
	v_sub_f32_e32 v84, v12, v124
	v_add_f32_e32 v85, v123, v25
	ds_write2_b64 v125, v[14:15], v[84:85] offset0:56 offset1:84
	v_add_f32_e32 v14, v124, v12
	v_sub_f32_e32 v15, v25, v123
	v_sub_f32_e32 v84, v9, v6
	v_add_f32_e32 v85, v10, v26
	ds_write2_b64 v125, v[14:15], v[84:85] offset0:112 offset1:140
	v_add_f32_e32 v15, v29, v28
	v_mov_b32_e32 v28, v53
	v_mov_b32_e32 v29, v57
	v_sub_f32_e32 v14, v27, v34
	v_mov_b32_e32 v26, v52
	v_mov_b32_e32 v27, v56
	v_pk_mul_f32 v[84:85], v[118:119], v[28:29]
	v_accvgpr_write_b32 a137, v29
	v_accvgpr_write_b32 a136, v28
	v_pk_fma_f32 v[118:119], v[18:19], v[26:27], v[84:85] neg_lo:[0,0,1] neg_hi:[0,0,1]
	v_pk_fma_f32 v[18:19], v[18:19], v[26:27], v[84:85]
	v_accvgpr_write_b32 a135, v27
	v_mul_f32_e32 v84, v90, v51
	v_mov_b32_e32 v120, v91
	v_mov_b32_e32 v121, v82
	;; [unrolled: 1-line block ×4, first 2 shown]
	v_accvgpr_write_b32 a134, v26
	v_fmac_f32_e32 v84, v91, v50
	v_mov_b32_e32 v26, v50
	v_mov_b32_e32 v27, v58
	;; [unrolled: 1-line block ×3, first 2 shown]
	v_pk_mul_f32 v[120:121], v[120:121], v[28:29]
	v_mov_b32_e32 v24, v125
	v_pk_fma_f32 v[124:125], v[90:91], v[26:27], v[120:121] neg_lo:[0,0,1] neg_hi:[0,0,1]
	v_accvgpr_write_b32 a131, v27
	v_pk_fma_f32 v[90:91], v[90:91], v[26:27], v[120:121]
	v_accvgpr_write_b32 a130, v26
	v_mov_b32_e32 v17, v118
	v_mov_b32_e32 v85, v124
	;; [unrolled: 1-line block ×3, first 2 shown]
	v_mul_f32_e32 v6, v89, v49
	v_add_f32_e32 v121, v16, v84
	v_pk_add_f32 v[16:17], v[16:17], v[84:85] neg_lo:[0,1] neg_hi:[0,1]
	v_mov_b32_e32 v26, v59
	v_fma_f32 v59, v88, v48, -v6
	v_mov_b32_e32 v85, v88
	v_mov_b32_e32 v88, v83
	v_accvgpr_write_b32 a139, v27
	v_pk_mul_f32 v[88:89], v[88:89], v[26:27]
	v_accvgpr_write_b32 a138, v26
	v_mov_b32_e32 v84, v82
	v_mov_b32_e32 v26, v58
	;; [unrolled: 1-line block ×3, first 2 shown]
	v_pk_fma_f32 v[82:83], v[82:83], v[58:59], v[88:89] neg_lo:[0,0,1] neg_hi:[0,0,1]
	v_pk_fma_f32 v[84:85], v[84:85], v[26:27], v[88:89]
	v_mov_b32_e32 v9, v13
	v_mov_b32_e32 v10, v13
	v_mov_b32_e32 v83, v85
	v_mov_b32_e32 v58, v85
	v_mov_b32_e32 v119, v19
	v_mov_b32_e32 v84, v91
	v_mov_b32_e32 v85, v82
	v_mov_b32_e32 v18, v19
	v_mov_b32_e32 v19, v8
	v_add_f32_e32 v12, v11, v59
	v_pk_add_f32 v[10:11], v[10:11], v[58:59] neg_lo:[0,1] neg_hi:[0,1]
	v_pk_add_f32 v[82:83], v[8:9], v[82:83]
	v_pk_add_f32 v[8:9], v[84:85], v[18:19] neg_lo:[0,1] neg_hi:[0,1]
	v_mov_b32_e32 v125, v91
	v_mov_b32_e32 v18, v8
	;; [unrolled: 1-line block ×5, first 2 shown]
	v_pk_add_f32 v[58:59], v[118:119], v[124:125]
	v_pk_add_f32 v[18:19], v[18:19], v[84:85] neg_lo:[0,1] neg_hi:[0,1]
	v_mov_b32_e32 v84, v16
	v_pk_add_f32 v[88:89], v[8:9], v[10:11]
	v_mov_b32_e32 v9, v11
	v_pk_add_f32 v[8:9], v[84:85], v[8:9] neg_lo:[0,1] neg_hi:[0,1]
	v_add_f32_e32 v84, v12, v58
	v_mov_b32_e32 v85, v59
	v_add_f32_e32 v91, v83, v121
	v_mov_b32_e32 v90, v82
	s_mov_b32 s8, 0x3d64c772
	v_mov_b32_e32 v120, v82
	v_mov_b32_e32 v13, v59
	v_pk_add_f32 v[84:85], v[84:85], v[90:91]
	s_mov_b32 s9, 0x3f4a47b2
	v_pk_add_f32 v[90:91], v[120:121], v[12:13] neg_lo:[0,1] neg_hi:[0,1]
	v_pk_add_f32 v[86:87], v[86:87], v[84:85]
	s_mov_b32 s6, s9
	s_mov_b32 s7, s8
	v_pk_mul_f32 v[90:91], v[90:91], s[8:9]
	v_pk_mul_f32 v[18:19], v[18:19], s[20:21]
	v_pk_add_f32 v[118:119], v[58:59], v[82:83] neg_lo:[0,1] neg_hi:[0,1]
	v_pk_add_f32 v[88:89], v[88:89], v[16:17]
	v_pk_fma_f32 v[84:85], v[84:85], s[12:13], v[86:87] op_sel_hi:[1,0,1] neg_lo:[1,0,0] neg_hi:[1,0,0]
	v_pk_fma_f32 v[124:125], v[118:119], s[6:7], v[90:91]
	v_pk_fma_f32 v[126:127], v[8:9], s[18:19], v[18:19]
	v_pk_add_f32 v[124:125], v[124:125], v[84:85]
	v_pk_fma_f32 v[126:127], v[88:89], s[16:17], v[126:127] op_sel_hi:[1,0,1]
	ds_write_b64 v24, v[14:15] offset:1344
	v_pk_add_f32 v[128:129], v[124:125], v[126:127] neg_lo:[0,1] neg_hi:[0,1]
	v_pk_add_f32 v[124:125], v[124:125], v[126:127]
	v_mov_b32_e32 v15, v129
	v_mov_b32_e32 v14, v124
	ds_write2_b64 v3, v[86:87], v[14:15] offset1:28
	v_mov_b32_e32 v13, v83
	v_mov_b32_e32 v59, v121
	v_pk_mul_f32 v[14:15], v[118:119], s[6:7]
	v_pk_mul_f32 v[8:9], v[8:9], s[18:19]
	v_pk_add_f32 v[12:13], v[12:13], v[58:59] neg_lo:[0,1] neg_hi:[0,1]
	v_pk_add_f32 v[10:11], v[10:11], v[16:17] neg_lo:[0,1] neg_hi:[0,1]
	v_mov_b32_e32 v16, v14
	v_mov_b32_e32 v17, v91
	v_mov_b32_e32 v58, v8
	v_mov_b32_e32 v59, v19
	v_mov_b32_e32 v91, v15
	v_mov_b32_e32 v19, v9
	v_pk_fma_f32 v[16:17], v[12:13], s[2:3], v[16:17] op_sel_hi:[1,0,1] neg_lo:[1,0,1] neg_hi:[1,0,1]
	v_pk_fma_f32 v[58:59], v[10:11], s[14:15], v[58:59] op_sel_hi:[1,0,1] neg_lo:[1,0,1] neg_hi:[1,0,1]
	;; [unrolled: 1-line block ×4, first 2 shown]
	v_pk_add_f32 v[16:17], v[16:17], v[84:85]
	v_pk_fma_f32 v[58:59], v[88:89], s[16:17], v[58:59] op_sel_hi:[1,0,1]
	v_pk_add_f32 v[10:11], v[12:13], v[84:85]
	v_pk_fma_f32 v[8:9], v[88:89], s[16:17], v[8:9] op_sel_hi:[1,0,1]
	v_pk_add_f32 v[82:83], v[16:17], v[58:59] neg_lo:[0,1] neg_hi:[0,1]
	v_pk_add_f32 v[16:17], v[16:17], v[58:59]
	v_pk_add_f32 v[12:13], v[10:11], v[8:9]
	v_pk_add_f32 v[8:9], v[10:11], v[8:9] neg_lo:[0,1] neg_hi:[0,1]
	v_mov_b32_e32 v10, v16
	v_mov_b32_e32 v11, v83
	;; [unrolled: 1-line block ×6, first 2 shown]
	ds_write2_b64 v3, v[10:11], v[14:15] offset0:56 offset1:84
	ds_write2_b64 v3, v[12:13], v[82:83] offset0:112 offset1:140
	v_mov_b32_e32 v12, v41
	v_mov_b32_e32 v13, v45
	;; [unrolled: 1-line block ×8, first 2 shown]
	v_pk_mul_f32 v[10:11], v[10:11], v[12:13]
	v_accvgpr_write_b32 a149, v13
	v_accvgpr_write_b32 a147, v15
	;; [unrolled: 1-line block ×3, first 2 shown]
	v_pk_fma_f32 v[12:13], v[8:9], v[14:15], v[10:11] neg_lo:[0,0,1] neg_hi:[0,0,1]
	v_pk_fma_f32 v[8:9], v[8:9], v[14:15], v[10:11]
	v_accvgpr_write_b32 a146, v14
	v_mov_b32_e32 v19, v46
	v_mov_b32_e32 v14, v105
	;; [unrolled: 1-line block ×3, first 2 shown]
	s_waitcnt vmcnt(0)
	v_mov_b32_e32 v16, v81
	v_mov_b32_e32 v17, v47
	;; [unrolled: 1-line block ×5, first 2 shown]
	v_pk_mul_f32 v[14:15], v[14:15], v[16:17]
	v_accvgpr_write_b32 a145, v17
	v_accvgpr_write_b32 a143, v19
	;; [unrolled: 1-line block ×3, first 2 shown]
	v_pk_fma_f32 v[16:17], v[10:11], v[18:19], v[14:15] neg_lo:[0,0,1] neg_hi:[0,0,1]
	v_pk_fma_f32 v[10:11], v[10:11], v[18:19], v[14:15]
	v_accvgpr_write_b32 a142, v18
	v_mul_f32_e32 v14, v108, v41
	v_mul_f32_e32 v18, v104, v81
	v_accvgpr_write_b32 a141, v27
	v_fmac_f32_e32 v14, v109, v40
	v_fmac_f32_e32 v18, v105, v80
	v_mov_b32_e32 v15, v12
	v_mov_b32_e32 v19, v16
	v_mul_f32_e32 v8, v101, v79
	v_accvgpr_write_b32 a133, v29
	v_accvgpr_write_b32 a140, v26
	;; [unrolled: 1-line block ×3, first 2 shown]
	v_mov_b32_e32 v24, v3
	v_add_f32_e32 v59, v14, v18
	v_pk_add_f32 v[14:15], v[14:15], v[18:19] neg_lo:[0,1] neg_hi:[0,1]
	v_mov_b32_e32 v3, v7
	v_mov_b32_e32 v26, v47
	;; [unrolled: 1-line block ×4, first 2 shown]
	v_fma_f32 v19, v100, v78, -v8
	v_mov_b32_e32 v100, v97
	v_accvgpr_write_b32 a132, v28
	v_mov_b32_e32 v28, v46
	v_mov_b32_e32 v29, v79
	;; [unrolled: 1-line block ×3, first 2 shown]
	v_pk_mul_f32 v[70:71], v[100:101], v[26:27]
	v_mov_b32_e32 v13, v9
	v_pk_fma_f32 v[6:7], v[6:7], v[28:29], v[70:71]
	v_pk_fma_f32 v[46:47], v[96:97], v[46:47], v[70:71] neg_lo:[0,0,1] neg_hi:[0,0,1]
	v_mov_b32_e32 v18, v7
	v_mov_b32_e32 v47, v7
	;; [unrolled: 1-line block ×7, first 2 shown]
	v_add_f32_e32 v6, v5, v19
	v_pk_add_f32 v[4:5], v[4:5], v[18:19] neg_lo:[0,1] neg_hi:[0,1]
	v_pk_add_f32 v[12:13], v[12:13], v[16:17]
	v_pk_add_f32 v[16:17], v[2:3], v[46:47]
	v_pk_add_f32 v[2:3], v[10:11], v[8:9] neg_lo:[0,1] neg_hi:[0,1]
	v_mov_b32_e32 v9, v15
	v_mov_b32_e32 v8, v2
	;; [unrolled: 1-line block ×4, first 2 shown]
	v_pk_add_f32 v[8:9], v[8:9], v[10:11] neg_lo:[0,1] neg_hi:[0,1]
	v_mov_b32_e32 v10, v14
	v_pk_add_f32 v[18:19], v[2:3], v[4:5]
	v_mov_b32_e32 v3, v5
	v_pk_add_f32 v[2:3], v[10:11], v[2:3] neg_lo:[0,1] neg_hi:[0,1]
	v_add_f32_e32 v10, v6, v12
	v_mov_b32_e32 v11, v13
	v_add_f32_e32 v47, v17, v59
	v_mov_b32_e32 v46, v16
	v_mov_b32_e32 v58, v16
	;; [unrolled: 1-line block ×3, first 2 shown]
	v_pk_add_f32 v[10:11], v[10:11], v[46:47]
	v_pk_add_f32 v[46:47], v[58:59], v[6:7] neg_lo:[0,1] neg_hi:[0,1]
	v_pk_mul_f32 v[8:9], v[8:9], s[20:21]
	v_pk_add_f32 v[82:83], v[12:13], v[16:17] neg_lo:[0,1] neg_hi:[0,1]
	v_mov_b32_e32 v7, v17
	v_mov_b32_e32 v13, v59
	v_pk_mul_f32 v[46:47], v[46:47], s[8:9]
	v_pk_fma_f32 v[86:87], v[2:3], s[18:19], v[8:9]
	v_pk_add_f32 v[6:7], v[6:7], v[12:13] neg_lo:[0,1] neg_hi:[0,1]
	v_pk_mul_f32 v[12:13], v[82:83], s[6:7]
	v_pk_mul_f32 v[2:3], v[2:3], s[18:19]
	v_pk_add_f32 v[18:19], v[18:19], v[14:15]
	v_pk_add_f32 v[70:71], v[92:93], v[10:11]
	v_pk_fma_f32 v[84:85], v[82:83], s[6:7], v[46:47]
	v_pk_add_f32 v[4:5], v[4:5], v[14:15] neg_lo:[0,1] neg_hi:[0,1]
	v_mov_b32_e32 v14, v12
	v_mov_b32_e32 v15, v47
	;; [unrolled: 1-line block ×6, first 2 shown]
	v_pk_fma_f32 v[10:11], v[10:11], s[12:13], v[70:71] op_sel_hi:[1,0,1] neg_lo:[1,0,0] neg_hi:[1,0,0]
	v_pk_fma_f32 v[14:15], v[6:7], s[2:3], v[14:15] op_sel_hi:[1,0,1] neg_lo:[1,0,1] neg_hi:[1,0,1]
	;; [unrolled: 1-line block ×5, first 2 shown]
	v_pk_add_f32 v[14:15], v[14:15], v[10:11]
	v_pk_fma_f32 v[16:17], v[18:19], s[16:17], v[16:17] op_sel_hi:[1,0,1]
	v_pk_add_f32 v[4:5], v[6:7], v[10:11]
	v_pk_fma_f32 v[2:3], v[18:19], s[16:17], v[2:3] op_sel_hi:[1,0,1]
	v_pk_add_f32 v[58:59], v[14:15], v[16:17] neg_lo:[0,1] neg_hi:[0,1]
	v_pk_add_f32 v[14:15], v[14:15], v[16:17]
	v_pk_add_f32 v[6:7], v[4:5], v[2:3]
	v_pk_add_f32 v[2:3], v[4:5], v[2:3] neg_lo:[0,1] neg_hi:[0,1]
	v_mov_b32_e32 v129, v125
	v_mov_b32_e32 v4, v14
	;; [unrolled: 1-line block ×7, first 2 shown]
	ds_write_b64 v24, v[128:129] offset:1344
	ds_write2_b64 v185, v[4:5], v[8:9] offset0:56 offset1:84
	ds_write2_b64 v185, v[6:7], v[58:59] offset0:112 offset1:140
	v_mov_b32_e32 v6, v111
	v_mov_b32_e32 v8, v181
	;; [unrolled: 1-line block ×8, first 2 shown]
	v_pk_add_f32 v[84:85], v[84:85], v[10:11]
	v_mov_b32_e32 v4, v110
	v_mov_b32_e32 v5, v73
	v_pk_mul_f32 v[6:7], v[6:7], v[8:9]
	v_accvgpr_write_b32 a159, v9
	v_mov_b32_e32 v10, v106
	v_mov_b32_e32 v16, v250
	;; [unrolled: 1-line block ×4, first 2 shown]
	v_pk_mul_f32 v[12:13], v[12:13], v[14:15]
	v_accvgpr_write_b32 a157, v15
	v_mul_f32_e32 v2, v110, v181
	v_accvgpr_write_b32 a158, v8
	v_pk_fma_f32 v[8:9], v[4:5], v[190:191], v[6:7] neg_lo:[0,0,1] neg_hi:[0,0,1]
	v_pk_fma_f32 v[4:5], v[4:5], v[190:191], v[6:7]
	v_mul_f32_e32 v6, v106, v251
	v_accvgpr_write_b32 a156, v14
	v_pk_fma_f32 v[14:15], v[10:11], v[16:17], v[12:13] neg_lo:[0,0,1] neg_hi:[0,0,1]
	v_fmac_f32_e32 v2, v111, v180
	v_fmac_f32_e32 v6, v107, v250
	v_accvgpr_write_b32 a155, v17
	v_mov_b32_e32 v3, v8
	v_mov_b32_e32 v7, v14
	;; [unrolled: 1-line block ×3, first 2 shown]
	v_mul_f32_e32 v1, v103, v249
	v_accvgpr_write_b32 a107, v24
	v_pk_fma_f32 v[10:11], v[10:11], v[16:17], v[12:13]
	v_accvgpr_write_b32 a154, v16
	v_add_f32_e32 v13, v2, v6
	v_pk_add_f32 v[2:3], v[2:3], v[6:7] neg_lo:[0,1] neg_hi:[0,1]
	v_mov_b32_e32 v24, v39
	v_fma_f32 v7, v102, v248, -v1
	v_mov_b32_e32 v17, v102
	v_mov_b32_e32 v102, v99
	v_accvgpr_write_b32 a161, v25
	v_pk_fma_f32 v[86:87], v[18:19], s[16:17], v[86:87] op_sel_hi:[1,0,1]
	v_pk_mul_f32 v[18:19], v[102:103], v[24:25]
	v_accvgpr_write_b32 a160, v24
	v_mov_b32_e32 v16, v98
	v_mov_b32_e32 v24, v38
	;; [unrolled: 1-line block ×3, first 2 shown]
	v_pk_fma_f32 v[46:47], v[98:99], v[38:39], v[18:19] neg_lo:[0,0,1] neg_hi:[0,0,1]
	v_pk_fma_f32 v[16:17], v[16:17], v[24:25], v[18:19]
	v_mov_b32_e32 v1, v117
	v_mov_b32_e32 v47, v17
	v_mov_b32_e32 v6, v17
	v_mov_b32_e32 v9, v5
	v_mov_b32_e32 v15, v11
	v_mov_b32_e32 v10, v11
	v_mov_b32_e32 v11, v46
	v_mov_b32_e32 v16, v5
	v_mov_b32_e32 v17, v0
	v_add_f32_e32 v4, v61, v7
	v_pk_add_f32 v[6:7], v[60:61], v[6:7] neg_lo:[0,1] neg_hi:[0,1]
	v_pk_add_f32 v[8:9], v[8:9], v[14:15]
	v_pk_add_f32 v[14:15], v[0:1], v[46:47]
	v_pk_add_f32 v[0:1], v[10:11], v[16:17] neg_lo:[0,1] neg_hi:[0,1]
	v_mov_b32_e32 v11, v3
	v_mov_b32_e32 v10, v0
	;; [unrolled: 1-line block ×4, first 2 shown]
	v_pk_add_f32 v[88:89], v[84:85], v[86:87] neg_lo:[0,1] neg_hi:[0,1]
	v_pk_add_f32 v[84:85], v[84:85], v[86:87]
	v_pk_add_f32 v[10:11], v[10:11], v[16:17] neg_lo:[0,1] neg_hi:[0,1]
	v_mov_b32_e32 v16, v2
	v_pk_add_f32 v[18:19], v[0:1], v[6:7]
	v_mov_b32_e32 v1, v7
	v_mov_b32_e32 v12, v14
	;; [unrolled: 1-line block ×5, first 2 shown]
	v_pk_add_f32 v[0:1], v[16:17], v[0:1] neg_lo:[0,1] neg_hi:[0,1]
	v_add_f32_e32 v16, v4, v8
	v_mov_b32_e32 v17, v9
	v_add_f32_e32 v39, v15, v13
	v_mov_b32_e32 v38, v14
	v_pk_add_f32 v[46:47], v[12:13], v[4:5] neg_lo:[0,1] neg_hi:[0,1]
	v_pk_mul_f32 v[10:11], v[10:11], s[20:21]
	v_pk_add_f32 v[58:59], v[8:9], v[14:15] neg_lo:[0,1] neg_hi:[0,1]
	v_mad_legacy_u16 v5, v115, s22, v122
	ds_write2_b64 v185, v[70:71], v[86:87] offset1:28
	v_pk_add_f32 v[16:17], v[16:17], v[38:39]
	v_pk_add_f32 v[18:19], v[18:19], v[2:3]
	v_pk_mul_f32 v[46:47], v[46:47], s[8:9]
	v_pk_fma_f32 v[70:71], v[0:1], s[18:19], v[10:11]
	v_lshlrev_b32_e32 v167, 3, v5
	v_mov_b32_e32 v5, v15
	v_mov_b32_e32 v9, v13
	v_pk_add_f32 v[2:3], v[6:7], v[2:3] neg_lo:[0,1] neg_hi:[0,1]
	v_pk_mul_f32 v[6:7], v[58:59], s[6:7]
	v_pk_mul_f32 v[0:1], v[0:1], s[18:19]
	v_pk_add_f32 v[38:39], v[94:95], v[16:17]
	v_pk_fma_f32 v[60:61], v[58:59], s[6:7], v[46:47]
	v_pk_add_f32 v[4:5], v[4:5], v[8:9] neg_lo:[0,1] neg_hi:[0,1]
	v_mov_b32_e32 v8, v6
	v_mov_b32_e32 v9, v47
	;; [unrolled: 1-line block ×5, first 2 shown]
	v_pk_fma_f32 v[16:17], v[16:17], s[12:13], v[38:39] op_sel_hi:[1,0,1] neg_lo:[1,0,0] neg_hi:[1,0,0]
	v_pk_fma_f32 v[8:9], v[4:5], s[2:3], v[8:9] op_sel_hi:[1,0,1] neg_lo:[1,0,1] neg_hi:[1,0,1]
	v_mov_b32_e32 v12, v0
	v_pk_fma_f32 v[4:5], v[4:5], s[2:3], v[46:47] op_sel_hi:[1,0,1] neg_lo:[0,0,1] neg_hi:[0,0,1]
	v_pk_fma_f32 v[0:1], v[2:3], s[14:15], v[10:11] op_sel_hi:[1,0,1] neg_lo:[0,0,1] neg_hi:[0,0,1]
	;; [unrolled: 1-line block ×3, first 2 shown]
	v_pk_add_f32 v[2:3], v[4:5], v[16:17]
	v_pk_fma_f32 v[0:1], v[18:19], s[16:17], v[0:1] op_sel_hi:[1,0,1]
	v_pk_add_f32 v[8:9], v[8:9], v[16:17]
	v_pk_add_f32 v[4:5], v[2:3], v[0:1]
	v_pk_add_f32 v[0:1], v[2:3], v[0:1] neg_lo:[0,1] neg_hi:[0,1]
	v_pk_fma_f32 v[12:13], v[18:19], s[16:17], v[12:13] op_sel_hi:[1,0,1]
	v_mov_b32_e32 v6, v0
	v_lshrrev_b16_e32 v0, 2, v22
	v_mul_u32_u24_e32 v0, 0xa73, v0
	v_lshrrev_b32_e32 v0, 17, v0
	v_mul_lo_u16_e32 v0, 0xc4, v0
	v_pk_add_f32 v[60:61], v[60:61], v[16:17]
	v_pk_fma_f32 v[70:71], v[18:19], s[16:17], v[70:71] op_sel_hi:[1,0,1]
	v_pk_add_f32 v[14:15], v[8:9], v[12:13] neg_lo:[0,1] neg_hi:[0,1]
	v_pk_add_f32 v[8:9], v[8:9], v[12:13]
	v_sub_u16_e32 v108, v22, v0
	v_pk_add_f32 v[72:73], v[60:61], v[70:71] neg_lo:[0,1] neg_hi:[0,1]
	v_pk_add_f32 v[60:61], v[60:61], v[70:71]
	v_mov_b32_e32 v89, v85
	v_mov_b32_e32 v3, v15
	;; [unrolled: 1-line block ×5, first 2 shown]
	v_mul_lo_u16_e32 v0, 24, v108
	v_mov_b32_e32 v1, v245
	ds_write_b64 v185, v[88:89] offset:1344
	v_mov_b32_e32 v70, v60
	v_mov_b32_e32 v71, v73
	;; [unrolled: 1-line block ×3, first 2 shown]
	ds_write2_b64 v167, v[4:5], v[14:15] offset0:112 offset1:140
	v_mov_b32_e32 v73, v61
	v_lshl_add_u64 v[14:15], s[10:11], 0, v[0:1]
	v_mad_u64_u32 v[0:1], s[22:23], v184, 24, s[10:11]
	ds_write2_b64 v167, v[38:39], v[70:71] offset1:28
	ds_write2_b64 v167, v[2:3], v[6:7] offset0:56 offset1:84
	ds_write_b64 v167, v[72:73] offset:1344
	s_waitcnt lgkmcnt(0)
	s_barrier
	global_load_dwordx2 v[46:47], v[0:1], off offset:1528
	global_load_dwordx4 v[58:61], v[0:1], off offset:1512
	global_load_dwordx4 v[70:73], v[14:15], off offset:1512
	ds_read2_b64 v[2:5], v135 offset0:16 offset1:212
	v_accvgpr_write_b32 a153, v29
	v_accvgpr_write_b32 a152, v28
	ds_read2_b64 v[10:13], v136 offset0:48 offset1:244
	v_mov_b32_e32 v30, v130
	v_mov_b32_e32 v34, v131
	;; [unrolled: 1-line block ×3, first 2 shown]
	v_accvgpr_write_b32 a151, v27
	v_accvgpr_write_b32 a163, v25
	;; [unrolled: 1-line block ×4, first 2 shown]
	v_mov_b32_e32 v25, v135
	v_mov_b32_e32 v26, v136
	;; [unrolled: 1-line block ×4, first 2 shown]
	s_mov_b64 s[22:23], 0x1848
	v_accvgpr_write_b32 a85, v26
	v_accvgpr_write_b32 a84, v25
	;; [unrolled: 1-line block ×7, first 2 shown]
	s_waitcnt vmcnt(2) lgkmcnt(1)
	v_pk_mul_f32 v[0:1], v[4:5], v[46:47] op_sel:[0,1]
	s_nop 0
	v_pk_fma_f32 v[16:17], v[4:5], v[46:47], v[0:1] op_sel:[0,0,1] op_sel_hi:[1,1,0] neg_lo:[0,0,1] neg_hi:[0,0,1]
	v_pk_fma_f32 v[18:19], v[4:5], v[46:47], v[0:1] op_sel:[0,0,1] op_sel_hi:[1,0,0]
	s_waitcnt vmcnt(0)
	v_mov_b32_e32 v0, v73
	v_pk_mul_f32 v[4:5], v[2:3], v[0:1] op_sel_hi:[1,0]
	s_waitcnt lgkmcnt(0)
	v_pk_mul_f32 v[6:7], v[12:13], v[70:71] op_sel_hi:[1,0]
	v_pk_fma_f32 v[0:1], v[2:3], v[72:73], v[4:5] op_sel:[0,0,1] op_sel_hi:[1,1,0] neg_lo:[0,0,1] neg_hi:[0,0,1]
	v_pk_fma_f32 v[2:3], v[2:3], v[72:73], v[4:5] op_sel:[0,0,1] op_sel_hi:[1,0,0]
	v_lshrrev_b16_e32 v1, 2, v21
	v_mul_u32_u24_e32 v1, 0xa73, v1
	v_lshrrev_b32_e32 v1, 17, v1
	v_mul_lo_u16_e32 v1, 0xc4, v1
	v_sub_u16_e32 v1, v21, v1
	v_mul_lo_u16_e32 v4, 24, v1
	v_mov_b32_e32 v5, v245
	v_lshl_add_u64 v[38:39], s[10:11], 0, v[4:5]
	global_load_dwordx4 v[82:85], v[38:39], off offset:1512
	global_load_dwordx2 v[28:29], v[14:15], off offset:1528
	global_load_dwordx2 v[32:33], v[38:39], off offset:1528
	ds_read2_b64 v[86:89], v130 offset0:40 offset1:236
	v_lshrrev_b16_e32 v2, 2, v20
	v_pk_fma_f32 v[4:5], v[12:13], v[70:71], v[6:7] op_sel:[0,1,1] op_sel_hi:[1,1,0]
	v_mul_u32_u24_e32 v2, 0xa73, v2
	ds_read2_b64 v[92:95], v131 offset0:8 offset1:204
	v_lshrrev_b32_e32 v2, 17, v2
	v_mul_u32_u24_e32 v5, 0xa73, v23
	v_mul_lo_u16_e32 v2, 0xc4, v2
	v_lshrrev_b32_e32 v5, 17, v5
	v_pk_fma_f32 v[6:7], v[12:13], v[70:71], v[6:7] op_sel:[0,1,1] op_sel_hi:[1,1,0] neg_lo:[1,0,0] neg_hi:[1,0,0]
	v_sub_u16_e32 v2, v20, v2
	v_mul_lo_u16_e32 v5, 0xc4, v5
	v_mul_lo_u16_e32 v20, 24, v2
	v_mov_b32_e32 v21, v245
	v_sub_u16_e32 v5, v114, v5
	v_lshl_add_u64 v[110:111], s[10:11], 0, v[20:21]
	v_mul_lo_u16_e32 v22, 24, v5
	v_mov_b32_e32 v23, v245
	v_lshl_add_u64 v[118:119], s[10:11], 0, v[22:23]
	global_load_dwordx4 v[102:105], v[118:119], off offset:1512
	ds_read2_b64 v[114:117], v132 offset0:40 offset1:236
	v_mov_b32_e32 v17, v19
	v_lshlrev_b32_e32 v5, 3, v5
	v_lshlrev_b32_e32 v2, 3, v2
	;; [unrolled: 1-line block ×3, first 2 shown]
	v_accvgpr_write_b32 a106, v73
	v_mov_b32_e32 v73, v169
	v_accvgpr_write_b32 a110, v61
	s_waitcnt vmcnt(3)
	v_pk_mul_f32 v[12:13], v[10:11], v[82:83] op_sel_hi:[1,0]
	s_waitcnt vmcnt(2) lgkmcnt(2)
	v_pk_mul_f32 v[14:15], v[88:89], v[28:29] op_sel_hi:[1,0]
	v_mov_b32_e32 v6, v85
	v_pk_fma_f32 v[8:9], v[10:11], v[82:83], v[12:13] op_sel:[0,1,1] op_sel_hi:[1,1,0]
	v_pk_fma_f32 v[10:11], v[10:11], v[82:83], v[12:13] op_sel:[0,1,1] op_sel_hi:[1,1,0] neg_lo:[1,0,0] neg_hi:[1,0,0]
	v_pk_fma_f32 v[12:13], v[88:89], v[28:29], v[14:15] op_sel:[0,1,1] op_sel_hi:[1,1,0]
	v_pk_fma_f32 v[14:15], v[88:89], v[28:29], v[14:15] op_sel:[0,1,1] op_sel_hi:[1,1,0] neg_lo:[1,0,0] neg_hi:[1,0,0]
	s_waitcnt vmcnt(1)
	v_pk_mul_f32 v[88:89], v[86:87], v[32:33] op_sel_hi:[1,0]
	s_waitcnt lgkmcnt(1)
	v_pk_mul_f32 v[20:21], v[94:95], v[6:7] op_sel_hi:[1,0]
	v_pk_fma_f32 v[38:39], v[86:87], v[32:33], v[88:89] op_sel:[0,1,1] op_sel_hi:[1,1,0]
	v_pk_fma_f32 v[86:87], v[86:87], v[32:33], v[88:89] op_sel:[0,1,1] op_sel_hi:[1,1,0] neg_lo:[1,0,0] neg_hi:[1,0,0]
	v_pk_fma_f32 v[88:89], v[94:95], v[84:85], v[20:21] op_sel:[0,0,1] op_sel_hi:[1,1,0] neg_lo:[0,0,1] neg_hi:[0,0,1]
	v_pk_fma_f32 v[90:91], v[94:95], v[84:85], v[20:21] op_sel:[0,0,1] op_sel_hi:[1,0,0]
	global_load_dwordx4 v[94:97], v[110:111], off offset:1512
	v_accvgpr_write_b32 a101, v29
	v_accvgpr_write_b32 a103, v33
	;; [unrolled: 1-line block ×4, first 2 shown]
	global_load_dwordx2 v[28:29], v[110:111], off offset:1528
	global_load_dwordx2 v[32:33], v[118:119], off offset:1528
	v_mov_b32_e32 v14, v133
	v_mov_b32_e32 v89, v91
	s_waitcnt vmcnt(3) lgkmcnt(0)
	v_pk_mul_f32 v[106:107], v[114:115], v[102:103] op_sel_hi:[1,0]
	v_mov_b32_e32 v10, v105
	v_accvgpr_write_b32 a126, v105
	v_mov_b32_e32 v39, v87
	v_mov_b32_e32 v13, v15
	v_accvgpr_write_b32 a79, v14
	v_accvgpr_write_b32 a114, v85
	v_mov_b32_e32 v85, v168
	s_waitcnt vmcnt(2)
	v_mov_b32_e32 v6, v97
	v_pk_mul_f32 v[98:99], v[92:93], v[6:7] op_sel_hi:[1,0]
	v_pk_mul_f32 v[22:23], v[116:117], v[94:95] op_sel_hi:[1,0]
	v_pk_fma_f32 v[20:21], v[92:93], v[96:97], v[98:99] op_sel:[0,0,1] op_sel_hi:[1,1,0] neg_lo:[0,0,1] neg_hi:[0,0,1]
	v_pk_fma_f32 v[92:93], v[92:93], v[96:97], v[98:99] op_sel:[0,0,1] op_sel_hi:[1,0,0]
	v_pk_fma_f32 v[98:99], v[116:117], v[94:95], v[22:23] op_sel:[0,1,1] op_sel_hi:[1,1,0]
	v_pk_fma_f32 v[100:101], v[116:117], v[94:95], v[22:23] op_sel:[0,1,1] op_sel_hi:[1,1,0] neg_lo:[1,0,0] neg_hi:[1,0,0]
	v_pk_fma_f32 v[22:23], v[114:115], v[102:103], v[106:107] op_sel:[0,1,1] op_sel_hi:[1,1,0]
	v_pk_fma_f32 v[106:107], v[114:115], v[102:103], v[106:107] op_sel:[0,1,1] op_sel_hi:[1,1,0] neg_lo:[1,0,0] neg_hi:[1,0,0]
	ds_read2_b64 v[114:117], v133 offset0:32 offset1:228
	v_mul_u32_u24_e32 v6, 0xa73, v113
	v_lshrrev_b32_e32 v6, 17, v6
	v_mul_lo_u16_e32 v6, 0xc4, v6
	v_sub_u16_e32 v6, v112, v6
	s_waitcnt vmcnt(1) lgkmcnt(0)
	v_pk_mul_f32 v[110:111], v[116:117], v[28:29] op_sel_hi:[1,0]
	v_accvgpr_write_b32 a122, v97
	v_pk_fma_f32 v[126:127], v[116:117], v[28:29], v[110:111] op_sel:[0,1,1] op_sel_hi:[1,1,0]
	v_pk_fma_f32 v[128:129], v[116:117], v[28:29], v[110:111] op_sel:[0,1,1] op_sel_hi:[1,1,0] neg_lo:[1,0,0] neg_hi:[1,0,0]
	s_waitcnt vmcnt(0)
	v_pk_mul_f32 v[110:111], v[114:115], v[32:33] op_sel_hi:[1,0]
	v_mov_b32_e32 v97, v134
	v_pk_fma_f32 v[130:131], v[114:115], v[32:33], v[110:111] op_sel:[0,1,1] op_sel_hi:[1,1,0]
	v_pk_fma_f32 v[132:133], v[114:115], v[32:33], v[110:111] op_sel:[0,1,1] op_sel_hi:[1,1,0] neg_lo:[1,0,0] neg_hi:[1,0,0]
	v_mul_lo_u16_e32 v110, 24, v6
	v_mov_b32_e32 v111, v245
	v_lshl_add_u64 v[118:119], s[10:11], 0, v[110:111]
	ds_read2_b64 v[110:113], v134 offset1:196
	v_accvgpr_write_b32 a105, v29
	v_accvgpr_write_b32 a104, v28
	global_load_dwordx2 v[28:29], v[118:119], off offset:1528
	v_lshlrev_b32_e32 v6, 3, v6
	s_waitcnt lgkmcnt(0)
	v_pk_mul_f32 v[114:115], v[112:113], v[10:11] op_sel_hi:[1,0]
	v_add_u32_e32 v9, 0x3000, v6
	v_pk_fma_f32 v[134:135], v[112:113], v[104:105], v[114:115] op_sel:[0,0,1] op_sel_hi:[1,1,0] neg_lo:[0,0,1] neg_hi:[0,0,1]
	v_pk_fma_f32 v[136:137], v[112:113], v[104:105], v[114:115] op_sel:[0,0,1] op_sel_hi:[1,0,0]
	global_load_dwordx4 v[114:117], v[118:119], off offset:1512
	v_mov_b32_e32 v105, v146
	v_mov_b32_e32 v135, v137
	;; [unrolled: 1-line block ×4, first 2 shown]
	v_add_u32_e32 v245, 0x3c00, v6
	v_add_u32_e32 v6, 0x4800, v5
	;; [unrolled: 1-line block ×3, first 2 shown]
	v_mov_b32_e32 v21, v93
	v_mov_b32_e32 v99, v101
	;; [unrolled: 1-line block ×3, first 2 shown]
	v_accvgpr_write_b32 a119, v9
	v_accvgpr_write_b32 a120, v5
	;; [unrolled: 1-line block ×3, first 2 shown]
	v_mad_u64_u32 v[174:175], s[10:11], v184, 48, s[10:11]
	s_mov_b64 s[10:11], 0x3d08
	v_accvgpr_write_b32 a109, v33
	v_accvgpr_write_b32 a108, v32
	s_waitcnt vmcnt(1)
	v_accvgpr_write_b32 a125, v29
	v_accvgpr_write_b32 a124, v28
	s_waitcnt vmcnt(0)
	v_mov_b32_e32 v10, v117
	v_pk_mul_f32 v[112:113], v[110:111], v[10:11] op_sel_hi:[1,0]
	v_mov_b32_e32 v10, v61
	v_pk_fma_f32 v[138:139], v[110:111], v[116:117], v[112:113] op_sel:[0,0,1] op_sel_hi:[1,1,0] neg_lo:[0,0,1] neg_hi:[0,0,1]
	v_pk_fma_f32 v[140:141], v[110:111], v[116:117], v[112:113] op_sel:[0,0,1] op_sel_hi:[1,0,0]
	ds_read2_b64 v[110:113], v142 offset0:56 offset1:252
	v_accvgpr_write_b32 a128, v117
	v_mov_b32_e32 v117, v162
	v_mov_b32_e32 v139, v141
	s_waitcnt lgkmcnt(0)
	v_pk_mul_f32 v[120:121], v[110:111], v[10:11] op_sel_hi:[1,0]
	s_nop 0
	v_pk_fma_f32 v[122:123], v[110:111], v[60:61], v[120:121] op_sel:[0,0,1] op_sel_hi:[1,1,0] neg_lo:[0,0,1] neg_hi:[0,0,1]
	v_pk_fma_f32 v[120:121], v[110:111], v[60:61], v[120:121] op_sel:[0,0,1] op_sel_hi:[1,0,0]
	v_pk_mul_f32 v[110:111], v[112:113], v[10:11] op_sel_hi:[1,0]
	v_mov_b32_e32 v123, v121
	v_pk_fma_f32 v[142:143], v[112:113], v[60:61], v[110:111] op_sel:[0,0,1] op_sel_hi:[1,1,0] neg_lo:[0,0,1] neg_hi:[0,0,1]
	v_pk_fma_f32 v[144:145], v[112:113], v[60:61], v[110:111] op_sel:[0,0,1] op_sel_hi:[1,0,0]
	ds_read2_b64 v[110:113], v146 offset0:32 offset1:228
	v_mov_b32_e32 v143, v145
	v_accvgpr_read_b32 v61, a63
	s_waitcnt lgkmcnt(0)
	v_pk_mul_f32 v[124:125], v[112:113], v[114:115] op_sel_hi:[1,0]
	s_nop 0
	v_pk_fma_f32 v[146:147], v[112:113], v[114:115], v[124:125] op_sel:[0,1,1] op_sel_hi:[1,1,0]
	v_pk_fma_f32 v[148:149], v[112:113], v[114:115], v[124:125] op_sel:[0,1,1] op_sel_hi:[1,1,0] neg_lo:[1,0,0] neg_hi:[1,0,0]
	v_pk_mul_f32 v[112:113], v[110:111], v[58:59] op_sel_hi:[1,0]
	v_mov_b32_e32 v147, v149
	v_pk_fma_f32 v[150:151], v[110:111], v[58:59], v[112:113] op_sel:[0,1,1] op_sel_hi:[1,1,0]
	v_pk_fma_f32 v[152:153], v[110:111], v[58:59], v[112:113] op_sel:[0,1,1] op_sel_hi:[1,1,0] neg_lo:[1,0,0] neg_hi:[1,0,0]
	ds_read2_b64 v[110:113], v154 offset0:24 offset1:220
	v_mov_b32_e32 v151, v153
	s_waitcnt lgkmcnt(0)
	v_pk_mul_f32 v[118:119], v[112:113], v[28:29] op_sel_hi:[1,0]
	s_nop 0
	v_pk_fma_f32 v[154:155], v[112:113], v[28:29], v[118:119] op_sel:[0,1,1] op_sel_hi:[1,1,0]
	v_pk_fma_f32 v[156:157], v[112:113], v[28:29], v[118:119] op_sel:[0,1,1] op_sel_hi:[1,1,0] neg_lo:[1,0,0] neg_hi:[1,0,0]
	v_pk_mul_f32 v[112:113], v[110:111], v[46:47] op_sel_hi:[1,0]
	v_mov_b32_e32 v155, v157
	v_pk_fma_f32 v[158:159], v[110:111], v[46:47], v[112:113] op_sel:[0,1,1] op_sel_hi:[1,1,0]
	v_pk_fma_f32 v[160:161], v[110:111], v[46:47], v[112:113] op_sel:[0,1,1] op_sel_hi:[1,1,0] neg_lo:[1,0,0] neg_hi:[1,0,0]
	ds_read2_b64 v[110:113], v162 offset0:24 offset1:220
	v_mov_b32_e32 v159, v161
	s_waitcnt lgkmcnt(0)
	v_pk_mul_f32 v[118:119], v[112:113], v[58:59] op_sel:[0,1]
	s_nop 0
	v_pk_fma_f32 v[124:125], v[112:113], v[58:59], v[118:119] op_sel:[0,0,1] op_sel_hi:[1,1,0] neg_lo:[0,0,1] neg_hi:[0,0,1]
	v_pk_fma_f32 v[112:113], v[112:113], v[58:59], v[118:119] op_sel:[0,0,1] op_sel_hi:[1,0,0]
	ds_read2_b64 v[118:121], v244 offset1:196
	v_mov_b32_e32 v125, v113
	v_pk_add_f32 v[16:17], v[124:125], v[16:17] neg_lo:[0,1] neg_hi:[0,1]
	s_waitcnt lgkmcnt(0)
	v_pk_add_f32 v[18:19], v[118:119], v[122:123] neg_lo:[0,1] neg_hi:[0,1]
	v_pk_fma_f32 v[112:113], v[124:125], 2.0, v[16:17] op_sel_hi:[1,0,1] neg_lo:[0,0,1] neg_hi:[0,0,1]
	v_pk_add_f32 v[162:163], v[18:19], v[16:17] op_sel:[0,1] op_sel_hi:[1,0] neg_lo:[0,1] neg_hi:[0,1]
	v_pk_add_f32 v[16:17], v[18:19], v[16:17] op_sel:[0,1] op_sel_hi:[1,0]
	ds_read2_b64 v[122:125], v168 offset0:8 offset1:204
	v_mov_b32_e32 v163, v17
	v_pk_fma_f32 v[16:17], v[118:119], 2.0, v[18:19] op_sel_hi:[1,0,1] neg_lo:[0,0,1] neg_hi:[0,0,1]
	v_pk_fma_f32 v[164:165], v[18:19], 2.0, v[162:163] op_sel_hi:[1,0,1] neg_lo:[0,0,1] neg_hi:[0,0,1]
	v_pk_add_f32 v[112:113], v[16:17], v[112:113] neg_lo:[0,1] neg_hi:[0,1]
	s_waitcnt lgkmcnt(0)
	v_pk_add_f32 v[106:107], v[124:125], v[134:135] neg_lo:[0,1] neg_hi:[0,1]
	v_pk_fma_f32 v[118:119], v[16:17], 2.0, v[112:113] op_sel_hi:[1,0,1] neg_lo:[0,0,1] neg_hi:[0,0,1]
	ds_read2_b64 v[16:19], v169 offset0:16 offset1:212
	s_waitcnt lgkmcnt(0)
	s_barrier
	ds_write2_b64 v244, v[118:119], v[164:165] offset1:196
	ds_write2_b64 v168, v[112:113], v[162:163] offset0:8 offset1:204
	v_pk_add_f32 v[112:113], v[120:121], v[142:143] neg_lo:[0,1] neg_hi:[0,1]
	v_pk_add_f32 v[118:119], v[150:151], v[158:159] neg_lo:[0,1] neg_hi:[0,1]
	v_pk_fma_f32 v[120:121], v[120:121], 2.0, v[112:113] op_sel_hi:[1,0,1] neg_lo:[0,0,1] neg_hi:[0,0,1]
	v_pk_add_f32 v[142:143], v[112:113], v[118:119] neg_lo:[0,1] neg_hi:[0,1]
	v_pk_add_f32 v[144:145], v[112:113], v[118:119]
	v_pk_fma_f32 v[118:119], v[150:151], 2.0, v[118:119] op_sel_hi:[1,0,1] neg_lo:[0,0,1] neg_hi:[0,0,1]
	v_mov_b32_e32 v143, v145
	v_pk_add_f32 v[118:119], v[120:121], v[118:119] op_sel:[0,1] op_sel_hi:[1,0] neg_lo:[0,1] neg_hi:[0,1]
	v_pk_fma_f32 v[112:113], v[112:113], 2.0, v[142:143] op_sel_hi:[1,0,1] neg_lo:[0,0,1] neg_hi:[0,0,1]
	v_pk_fma_f32 v[120:121], v[120:121], 2.0, v[118:119] op_sel_hi:[1,0,1] neg_lo:[0,0,1] neg_hi:[0,0,1]
	ds_write2_b64 v169, v[120:121], v[112:113] offset0:16 offset1:212
	ds_write2_b64 v117, v[118:119], v[142:143] offset0:24 offset1:220
	v_pk_add_f32 v[112:113], v[122:123], v[138:139] neg_lo:[0,1] neg_hi:[0,1]
	v_pk_add_f32 v[118:119], v[146:147], v[154:155] neg_lo:[0,1] neg_hi:[0,1]
	;; [unrolled: 1-line block ×4, first 2 shown]
	v_pk_add_f32 v[138:139], v[112:113], v[118:119]
	v_pk_fma_f32 v[118:119], v[146:147], 2.0, v[118:119] op_sel_hi:[1,0,1] neg_lo:[0,0,1] neg_hi:[0,0,1]
	v_mov_b32_e32 v121, v139
	v_pk_fma_f32 v[138:139], v[112:113], 2.0, v[120:121] op_sel_hi:[1,0,1] neg_lo:[0,0,1] neg_hi:[0,0,1]
	v_pk_fma_f32 v[112:113], v[122:123], 2.0, v[112:113] op_sel_hi:[1,0,1] neg_lo:[0,0,1] neg_hi:[0,0,1]
	;; [unrolled: 1-line block ×3, first 2 shown]
	v_pk_add_f32 v[118:119], v[112:113], v[118:119] op_sel:[0,1] op_sel_hi:[1,0] neg_lo:[0,1] neg_hi:[0,1]
	ds_write2_b64 v245, v[118:119], v[120:121] offset0:40 offset1:236
	v_pk_fma_f32 v[112:113], v[112:113], 2.0, v[118:119] op_sel_hi:[1,0,1] neg_lo:[0,0,1] neg_hi:[0,0,1]
	ds_write2_b64 v9, v[112:113], v[138:139] offset0:32 offset1:228
	v_pk_add_f32 v[112:113], v[22:23], v[130:131] neg_lo:[0,1] neg_hi:[0,1]
	v_mov_b32_e32 v9, v11
	v_pk_add_f32 v[118:119], v[106:107], v[112:113] neg_lo:[0,1] neg_hi:[0,1]
	v_pk_add_f32 v[120:121], v[106:107], v[112:113]
	v_pk_fma_f32 v[22:23], v[22:23], 2.0, v[112:113] op_sel_hi:[1,0,1] neg_lo:[0,0,1] neg_hi:[0,0,1]
	v_mov_b32_e32 v119, v121
	v_pk_fma_f32 v[120:121], v[124:125], 2.0, v[106:107] op_sel_hi:[1,0,1] neg_lo:[0,0,1] neg_hi:[0,0,1]
	v_pk_add_f32 v[10:11], v[18:19], v[88:89] neg_lo:[0,1] neg_hi:[0,1]
	v_pk_add_f32 v[22:23], v[120:121], v[22:23] op_sel:[0,1] op_sel_hi:[1,0] neg_lo:[0,1] neg_hi:[0,1]
	ds_write2_b64 v5, v[22:23], v[118:119] offset0:56 offset1:252
	v_pk_fma_f32 v[112:113], v[120:121], 2.0, v[22:23] op_sel_hi:[1,0,1] neg_lo:[0,0,1] neg_hi:[0,0,1]
	v_pk_add_f32 v[22:23], v[98:99], v[126:127] neg_lo:[0,1] neg_hi:[0,1]
	v_add_u32_e32 v5, 0x6200, v2
	v_pk_add_f32 v[92:93], v[20:21], v[22:23] neg_lo:[0,1] neg_hi:[0,1]
	v_pk_add_f32 v[100:101], v[20:21], v[22:23]
	v_pk_fma_f32 v[22:23], v[98:99], 2.0, v[22:23] op_sel_hi:[1,0,1] neg_lo:[0,0,1] neg_hi:[0,0,1]
	v_mov_b32_e32 v93, v101
	v_pk_fma_f32 v[98:99], v[20:21], 2.0, v[92:93] op_sel_hi:[1,0,1] neg_lo:[0,0,1] neg_hi:[0,0,1]
	v_pk_add_f32 v[20:21], v[16:17], v[22:23] op_sel:[0,1] op_sel_hi:[1,0] neg_lo:[0,1] neg_hi:[0,1]
	v_add_u32_e32 v2, 0x6e00, v2
	v_pk_fma_f32 v[16:17], v[16:17], 2.0, v[20:21] op_sel_hi:[1,0,1] neg_lo:[0,0,1] neg_hi:[0,0,1]
	ds_write2_b64 v5, v[16:17], v[98:99] offset1:196
	v_pk_add_f32 v[16:17], v[8:9], v[38:39] neg_lo:[0,1] neg_hi:[0,1]
	ds_write2_b64 v2, v[20:21], v[92:93] offset0:8 offset1:204
	v_pk_add_f32 v[20:21], v[10:11], v[16:17] neg_lo:[0,1] neg_hi:[0,1]
	v_pk_add_f32 v[22:23], v[10:11], v[16:17]
	v_pk_fma_f32 v[18:19], v[18:19], 2.0, v[10:11] op_sel_hi:[1,0,1] neg_lo:[0,0,1] neg_hi:[0,0,1]
	v_pk_fma_f32 v[8:9], v[8:9], 2.0, v[16:17] op_sel_hi:[1,0,1] neg_lo:[0,0,1] neg_hi:[0,0,1]
	v_accvgpr_write_b32 a111, v2
	v_mov_b32_e32 v21, v23
	v_pk_add_f32 v[8:9], v[18:19], v[8:9] op_sel:[0,1] op_sel_hi:[1,0] neg_lo:[0,1] neg_hi:[0,1]
	v_add_u32_e32 v2, 0x7a00, v1
	v_add_u32_e32 v1, 0x8600, v1
	v_accvgpr_write_b32 a115, v5
	v_pk_fma_f32 v[10:11], v[10:11], 2.0, v[20:21] op_sel_hi:[1,0,1] neg_lo:[0,0,1] neg_hi:[0,0,1]
	v_pk_fma_f32 v[16:17], v[18:19], 2.0, v[8:9] op_sel_hi:[1,0,1] neg_lo:[0,0,1] neg_hi:[0,0,1]
	ds_write2_b64 v1, v[8:9], v[20:21] offset0:24 offset1:220
	v_accvgpr_write_b32 a113, v1
	v_mov_b32_e32 v1, v3
	v_mov_b32_e32 v5, v7
	v_pk_fma_f32 v[106:107], v[106:107], 2.0, v[118:119] op_sel_hi:[1,0,1] neg_lo:[0,0,1] neg_hi:[0,0,1]
	ds_write2_b64 v2, v[16:17], v[10:11] offset0:16 offset1:212
	v_accvgpr_write_b32 a112, v2
	v_pk_add_f32 v[0:1], v[110:111], v[0:1] neg_lo:[0,1] neg_hi:[0,1]
	v_pk_add_f32 v[2:3], v[4:5], v[12:13] neg_lo:[0,1] neg_hi:[0,1]
	ds_write2_b64 v6, v[112:113], v[106:107] offset0:48 offset1:244
	v_pk_add_f32 v[6:7], v[0:1], v[2:3] neg_lo:[0,1] neg_hi:[0,1]
	v_pk_add_f32 v[8:9], v[0:1], v[2:3]
	v_pk_fma_f32 v[2:3], v[4:5], 2.0, v[2:3] op_sel_hi:[1,0,1] neg_lo:[0,0,1] neg_hi:[0,0,1]
	v_mov_b32_e32 v7, v9
	v_pk_fma_f32 v[8:9], v[110:111], 2.0, v[0:1] op_sel_hi:[1,0,1] neg_lo:[0,0,1] neg_hi:[0,0,1]
	v_lshlrev_b32_e32 v10, 3, v108
	v_pk_add_f32 v[2:3], v[8:9], v[2:3] op_sel:[0,1] op_sel_hi:[1,0] neg_lo:[0,1] neg_hi:[0,1]
	v_pk_fma_f32 v[0:1], v[0:1], 2.0, v[6:7] op_sel_hi:[1,0,1] neg_lo:[0,0,1] neg_hi:[0,0,1]
	v_pk_fma_f32 v[4:5], v[8:9], 2.0, v[2:3] op_sel_hi:[1,0,1] neg_lo:[0,0,1] neg_hi:[0,0,1]
	v_add_u32_e32 v8, 0x9200, v10
	ds_write2_b64 v8, v[4:5], v[0:1] offset0:32 offset1:228
	v_add_u32_e32 v0, 0x9e00, v10
	ds_write2_b64 v0, v[2:3], v[6:7] offset0:40 offset1:236
	v_accvgpr_write_b32 a118, v0
	v_lshl_add_u64 v[0:1], v[174:175], 0, s[22:23]
	s_waitcnt lgkmcnt(0)
	s_barrier
	global_load_dwordx4 v[90:93], v[0:1], off offset:32
	v_lshl_add_u64 v[134:135], v[174:175], 0, s[10:11]
	global_load_dwordx4 v[86:89], v[134:135], off offset:32
	ds_read2_b64 v[2:5], v14 offset0:32 offset1:228
	v_accvgpr_write_b32 a116, v8
	ds_read2_b64 v[126:129], v105 offset0:32 offset1:228
	ds_read2_b64 v[136:139], v97 offset1:196
	s_mov_b64 s[10:11], 0x61c8
	s_waitcnt vmcnt(1) lgkmcnt(2)
	v_pk_mul_f32 v[6:7], v[2:3], v[92:93] op_sel_hi:[1,0]
	v_mov_b32_e32 v8, v93
	v_pk_fma_f32 v[32:33], v[2:3], v[8:9], v[6:7] op_sel:[0,0,1] op_sel_hi:[1,0,0]
	v_pk_fma_f32 v[8:9], v[2:3], v[8:9], v[6:7] op_sel:[0,0,1] op_sel_hi:[1,0,0] neg_lo:[1,0,0] neg_hi:[1,0,0]
	s_waitcnt vmcnt(0)
	v_pk_mul_f32 v[2:3], v[4:5], v[88:89] op_sel_hi:[1,0]
	v_mov_b32_e32 v6, v89
	v_pk_fma_f32 v[14:15], v[4:5], v[6:7], v[2:3] op_sel:[0,0,1] op_sel_hi:[1,0,0]
	v_pk_fma_f32 v[18:19], v[4:5], v[6:7], v[2:3] op_sel:[0,0,1] op_sel_hi:[1,0,0] neg_lo:[1,0,0] neg_hi:[1,0,0]
	v_add_co_u32_e32 v6, vcc, s15, v174
	s_waitcnt lgkmcnt(1)
	v_mov_b32_e32 v2, v127
	v_addc_co_u32_e32 v7, vcc, 0, v175, vcc
	v_add_co_u32_e32 v4, vcc, s17, v174
	s_waitcnt lgkmcnt(0)
	v_mov_b32_e32 v3, v136
	v_addc_co_u32_e32 v5, vcc, 0, v175, vcc
	global_load_dwordx4 v[98:101], v[6:7], off offset:2120
	global_load_dwordx4 v[122:125], v[0:1], off offset:16
	global_load_dwordx4 v[118:121], v[4:5], off offset:3336
	ds_read2_b64 v[130:133], v25 offset0:16 offset1:212
	ds_read2_b64 v[162:165], v26 offset0:48 offset1:244
	v_mov_b32_e32 v33, v9
	ds_read2_b64 v[140:143], v244 offset1:196
	ds_read2_b64 v[156:159], v35 offset0:56 offset1:252
	s_waitcnt lgkmcnt(3)
	v_mul_f32_e32 v7, v131, v91
	v_fma_f32 v38, v130, v90, -v7
	ds_read2_b64 v[148:151], v34 offset0:8 offset1:204
	ds_read2_b64 v[152:155], v31 offset0:24 offset1:220
	;; [unrolled: 1-line block ×3, first 2 shown]
	v_mov_b32_e32 v218, v133
	s_waitcnt lgkmcnt(5)
	v_mov_b32_e32 v219, v164
	v_mov_b32_e32 v242, v19
	v_mov_b32_e32 v15, v19
	s_waitcnt vmcnt(2)
	v_mul_f32_e32 v6, v127, v101
	v_mov_b32_e32 v127, v137
	v_mov_b32_e32 v4, v101
	s_waitcnt vmcnt(1)
	v_mov_b32_e32 v5, v125
	v_mov_b32_e32 v0, v100
	v_mov_b32_e32 v1, v124
	v_pk_mul_f32 v[4:5], v[126:127], v[4:5]
	v_fma_f32 v168, v126, v100, -v6
	v_pk_fma_f32 v[20:21], v[2:3], v[0:1], v[4:5] neg_lo:[0,0,1] neg_hi:[0,0,1]
	v_pk_fma_f32 v[28:29], v[2:3], v[100:101], v[4:5]
	v_mov_b32_e32 v0, v131
	v_mov_b32_e32 v131, v163
	;; [unrolled: 1-line block ×7, first 2 shown]
	v_pk_mul_f32 v[4:5], v[130:131], v[4:5]
	v_mov_b32_e32 v29, v21
	v_pk_fma_f32 v[22:23], v[0:1], v[2:3], v[4:5] neg_lo:[0,0,1] neg_hi:[0,0,1]
	v_pk_fma_f32 v[26:27], v[0:1], v[90:91], v[4:5]
	ds_read2_b64 v[0:3], v169 offset0:16 offset1:212
	v_mov_b32_e32 v27, v23
	v_pk_add_f32 v[188:189], v[28:29], v[26:27]
	v_mul_f32_e32 v169, v163, v122
	v_mul_f32_e32 v39, v162, v123
	s_waitcnt lgkmcnt(0)
	v_pk_mul_f32 v[4:5], v[0:1], v[98:99] op_sel_hi:[1,0]
	v_mov_b32_e32 v8, v21
	v_pk_fma_f32 v[24:25], v[0:1], v[98:99], v[4:5] op_sel:[0,1,1] op_sel_hi:[1,1,0]
	v_pk_fma_f32 v[0:1], v[0:1], v[98:99], v[4:5] op_sel:[0,1,1] op_sel_hi:[1,1,0] neg_lo:[1,0,0] neg_hi:[1,0,0]
	v_mov_b32_e32 v4, v9
	v_mov_b32_e32 v25, v1
	v_mov_b32_e32 v0, v1
	v_mul_f32_e32 v1, v137, v124
	v_mul_f32_e32 v5, v136, v125
	v_pk_add_f32 v[186:187], v[24:25], v[32:33]
	v_pk_add_f32 v[170:171], v[0:1], v[4:5]
	v_mov_b32_e32 v4, v23
	v_mov_b32_e32 v5, v188
	;; [unrolled: 1-line block ×3, first 2 shown]
	v_pk_add_f32 v[178:179], v[168:169], v[38:39]
	v_pk_add_f32 v[176:177], v[4:5], v[8:9]
	;; [unrolled: 1-line block ×3, first 2 shown]
	ds_read2_b64 v[160:163], v109 offset0:40 offset1:236
	v_pk_add_f32 v[0:1], v[172:173], v[176:177]
	global_load_dwordx4 v[134:137], v[134:135], off offset:16
	v_pk_add_f32 v[4:5], v[140:141], v[0:1]
	v_lshl_add_u64 v[140:141], v[174:175], 0, s[10:11]
	s_mov_b64 s[10:11], 0x8688
	global_load_dwordx4 v[110:113], v[140:141], off offset:32
	v_lshl_add_u64 v[34:35], v[174:175], 0, s[10:11]
	global_load_dwordx4 v[106:109], v[34:35], off offset:32
	ds_write_b64 v244, v[4:5]
	ds_read2_b64 v[198:201], v30 offset0:40 offset1:236
	v_accvgpr_write_b32 a167, v5
	v_accvgpr_write_b32 a166, v4
	;; [unrolled: 1-line block ×4, first 2 shown]
	v_mov_b32_e32 v126, v87
	v_add_u32_e32 v172, 0x600, v244
	v_accvgpr_read_b32 v187, a1
	v_mov_b32_e32 v177, v188
	v_accvgpr_read_b32 v189, a3
	s_mov_b64 s[10:11], 0xab80
	s_waitcnt vmcnt(2)
	v_mov_b32_e32 v127, v135
	v_mul_f32_e32 v225, v164, v135
	v_mul_f32_e32 v243, v138, v137
	s_waitcnt vmcnt(1) lgkmcnt(0)
	v_pk_mul_f32 v[4:5], v[198:199], v[112:113] op_sel_hi:[1,0]
	v_mov_b32_e32 v8, v113
	v_pk_fma_f32 v[254:255], v[198:199], v[8:9], v[4:5] op_sel:[0,0,1] op_sel_hi:[1,0,0]
	v_pk_fma_f32 v[22:23], v[198:199], v[8:9], v[4:5] op_sel:[0,0,1] op_sel_hi:[1,0,0] neg_lo:[1,0,0] neg_hi:[1,0,0]
	s_waitcnt vmcnt(0)
	v_pk_mul_f32 v[4:5], v[200:201], v[108:109] op_sel_hi:[1,0]
	v_mov_b32_e32 v18, v109
	v_pk_fma_f32 v[0:1], v[200:201], v[18:19], v[4:5] op_sel:[0,0,1] op_sel_hi:[1,0,0] neg_lo:[1,0,0] neg_hi:[1,0,0]
	v_pk_fma_f32 v[20:21], v[200:201], v[18:19], v[4:5] op_sel:[0,0,1] op_sel_hi:[1,0,0]
	v_mul_f32_e32 v0, v129, v121
	v_fma_f32 v200, v128, v120, -v0
	v_mul_f32_e32 v0, v133, v87
	v_mov_b32_e32 v133, v165
	v_pk_mul_f32 v[4:5], v[2:3], v[118:119] op_sel_hi:[1,0]
	v_pk_mul_f32 v[240:241], v[132:133], v[126:127]
	v_add_co_u32_e32 v126, vcc, s3, v174
	v_pk_fma_f32 v[208:209], v[2:3], v[118:119], v[4:5] op_sel:[0,1,1] op_sel_hi:[1,1,0]
	v_pk_fma_f32 v[202:203], v[2:3], v[118:119], v[4:5] op_sel:[0,1,1] op_sel_hi:[1,1,0] neg_lo:[1,0,0] neg_hi:[1,0,0]
	v_mov_b32_e32 v2, v129
	v_mov_b32_e32 v129, v139
	;; [unrolled: 1-line block ×4, first 2 shown]
	v_addc_co_u32_e32 v127, vcc, 0, v175, vcc
	v_pk_mul_f32 v[4:5], v[128:129], v[4:5]
	v_add_co_u32_e32 v128, vcc, s13, v174
	v_fma_f32 v224, v132, v86, -v0
	s_nop 0
	v_addc_co_u32_e32 v129, vcc, 0, v175, vcc
	global_load_dwordx4 v[130:133], v[126:127], off offset:456
	s_nop 0
	global_load_dwordx4 v[126:129], v[128:129], off offset:1672
	ds_read2_b64 v[236:239], v117 offset0:24 offset1:220
	v_mul_f32_e32 v201, v165, v134
	v_mov_b32_e32 v3, v138
	v_mov_b32_e32 v21, v1
	v_mul_f32_e32 v139, v139, v136
	v_mov_b32_e32 v138, v203
	v_mov_b32_e32 v209, v203
	v_pk_add_f32 v[202:203], v[138:139], v[242:243]
	v_pk_add_f32 v[10:11], v[208:209], v[14:15]
	v_mov_b32_e32 v255, v23
	v_mov_b32_e32 v22, v23
	;; [unrolled: 1-line block ×3, first 2 shown]
	s_waitcnt vmcnt(1) lgkmcnt(0)
	v_pk_mul_f32 v[164:165], v[236:237], v[130:131] op_sel_hi:[1,0]
	s_nop 0
	v_pk_fma_f32 v[198:199], v[236:237], v[130:131], v[164:165] op_sel:[0,1,1] op_sel_hi:[1,1,0]
	v_pk_fma_f32 v[6:7], v[236:237], v[130:131], v[164:165] op_sel:[0,1,1] op_sel_hi:[1,1,0] neg_lo:[1,0,0] neg_hi:[1,0,0]
	v_mov_b32_e32 v236, v120
	v_mov_b32_e32 v237, v136
	s_waitcnt vmcnt(0)
	v_pk_mul_f32 v[174:175], v[238:239], v[126:127] op_sel_hi:[1,0]
	v_pk_fma_f32 v[246:247], v[2:3], v[236:237], v[4:5] neg_lo:[0,0,1] neg_hi:[0,0,1]
	v_pk_fma_f32 v[4:5], v[2:3], v[120:121], v[4:5]
	v_mov_b32_e32 v2, v86
	v_mov_b32_e32 v3, v134
	v_pk_fma_f32 v[164:165], v[238:239], v[126:127], v[174:175] op_sel:[0,1,1] op_sel_hi:[1,1,0]
	v_pk_fma_f32 v[174:175], v[238:239], v[126:127], v[174:175] op_sel:[0,1,1] op_sel_hi:[1,1,0] neg_lo:[1,0,0] neg_hi:[1,0,0]
	v_pk_fma_f32 v[0:1], v[218:219], v[2:3], v[240:241] neg_lo:[0,0,1] neg_hi:[0,0,1]
	v_pk_fma_f32 v[238:239], v[218:219], v[86:87], v[240:241]
	v_mov_b32_e32 v5, v247
	v_mov_b32_e32 v239, v1
	v_pk_add_f32 v[240:241], v[200:201], v[224:225]
	v_pk_add_f32 v[218:219], v[208:209], v[14:15] neg_lo:[0,1] neg_hi:[0,1]
	v_pk_add_f32 v[236:237], v[4:5], v[238:239]
	v_pk_add_f32 v[238:239], v[4:5], v[238:239] neg_lo:[0,1] neg_hi:[0,1]
	v_mov_b32_e32 v5, v200
	v_mov_b32_e32 v4, v203
	;; [unrolled: 1-line block ×4, first 2 shown]
	v_pk_add_f32 v[200:201], v[4:5], v[14:15] neg_lo:[0,1] neg_hi:[0,1]
	v_mov_b32_e32 v0, v1
	v_mov_b32_e32 v1, v236
	;; [unrolled: 1-line block ×6, first 2 shown]
	v_pk_add_f32 v[0:1], v[0:1], v[4:5]
	v_pk_add_f32 v[4:5], v[240:241], v[202:203]
	v_pk_add_f32 v[138:139], v[138:139], v[238:239] neg_lo:[0,1] neg_hi:[0,1]
	v_pk_add_f32 v[14:15], v[4:5], v[0:1]
	v_pk_mul_f32 v[246:247], v[138:139], s[20:21]
	v_pk_add_f32 v[138:139], v[238:239], v[200:201]
	v_mov_b32_e32 v241, v5
	v_pk_add_f32 v[18:19], v[142:143], v[14:15]
	v_pk_add_f32 v[142:143], v[138:139], v[218:219]
	v_mov_b32_e32 v138, v0
	v_mov_b32_e32 v139, v10
	;; [unrolled: 1-line block ×3, first 2 shown]
	v_pk_add_f32 v[138:139], v[138:139], v[240:241] neg_lo:[0,1] neg_hi:[0,1]
	v_mov_b32_e32 v1, v236
	v_mov_b32_e32 v4, v218
	;; [unrolled: 1-line block ×3, first 2 shown]
	v_pk_add_f32 v[242:243], v[202:203], v[0:1] neg_lo:[0,1] neg_hi:[0,1]
	v_pk_mul_f32 v[208:209], v[138:139], s[8:9]
	v_pk_add_f32 v[12:13], v[4:5], v[200:201] neg_lo:[0,1] neg_hi:[0,1]
	v_pk_fma_f32 v[224:225], v[14:15], s[12:13], v[18:19] op_sel_hi:[1,0,1] neg_lo:[1,0,0] neg_hi:[1,0,0]
	v_pk_fma_f32 v[0:1], v[242:243], s[6:7], v[208:209]
	v_mov_b32_e32 v199, v7
	v_pk_add_f32 v[14:15], v[0:1], v[224:225]
	v_pk_fma_f32 v[0:1], v[12:13], s[18:19], v[246:247]
	v_mov_b32_e32 v6, v7
	v_pk_fma_f32 v[138:139], v[142:143], s[16:17], v[0:1] op_sel_hi:[1,0,1]
	v_mul_f32_e32 v4, v161, v133
	v_pk_add_f32 v[16:17], v[14:15], v[138:139]
	v_pk_add_f32 v[14:15], v[14:15], v[138:139] neg_lo:[0,1] neg_hi:[0,1]
	global_load_dwordx4 v[138:141], v[140:141], off offset:16
	v_mov_b32_e32 v0, v132
	v_mov_b32_e32 v239, v201
	v_pk_mul_f32 v[12:13], v[12:13], s[18:19]
	v_mov_b32_e32 v241, v236
	v_mov_b32_e32 v203, v10
	v_pk_mul_f32 v[200:201], v[242:243], s[6:7]
	v_pk_add_f32 v[10:11], v[240:241], v[202:203] neg_lo:[0,1] neg_hi:[0,1]
	v_mov_b32_e32 v202, v200
	v_mov_b32_e32 v203, v209
	;; [unrolled: 1-line block ×3, first 2 shown]
	v_pk_fma_f32 v[202:203], v[10:11], s[2:3], v[202:203] op_sel_hi:[1,0,1] neg_lo:[1,0,1] neg_hi:[1,0,1]
	v_pk_fma_f32 v[10:11], v[10:11], s[2:3], v[208:209] op_sel_hi:[1,0,1] neg_lo:[0,0,1] neg_hi:[0,0,1]
	v_pk_add_f32 v[202:203], v[202:203], v[224:225]
	v_pk_add_f32 v[10:11], v[10:11], v[224:225]
	v_accvgpr_read_b32 v208, a60
	v_accvgpr_read_b32 v201, a62
	v_mov_b32_e32 v165, v175
	v_accvgpr_read_b32 v200, a79
	v_accvgpr_read_b32 v224, a69
	;; [unrolled: 1-line block ×3, first 2 shown]
	s_waitcnt vmcnt(0)
	v_mul_f32_e32 v7, v149, v140
	v_mul_f32_e32 v23, v148, v141
	v_pk_add_f32 v[6:7], v[6:7], v[22:23]
	v_mov_b32_e32 v22, v161
	v_mov_b32_e32 v23, v148
	v_mov_b32_e32 v161, v149
	v_mov_b32_e32 v148, v133
	v_mov_b32_e32 v149, v141
	v_mov_b32_e32 v1, v140
	v_pk_mul_f32 v[148:149], v[160:161], v[148:149]
	v_mov_b32_e32 v31, v139
	v_pk_fma_f32 v[2:3], v[22:23], v[0:1], v[148:149] neg_lo:[0,0,1] neg_hi:[0,0,1]
	v_pk_fma_f32 v[22:23], v[22:23], v[132:133], v[148:149]
	v_mov_b32_e32 v148, v153
	v_mul_f32_e32 v2, v153, v111
	v_mov_b32_e32 v153, v157
	v_mov_b32_e32 v149, v156
	;; [unrolled: 1-line block ×4, first 2 shown]
	v_pk_mul_f32 v[30:31], v[152:153], v[30:31]
	v_fma_f32 v160, v160, v132, -v4
	v_pk_fma_f32 v[0:1], v[148:149], v[0:1], v[30:31] neg_lo:[0,0,1] neg_hi:[0,0,1]
	v_pk_fma_f32 v[30:31], v[148:149], v[110:111], v[30:31]
	v_mul_f32_e32 v161, v157, v138
	v_fma_f32 v152, v152, v110, -v2
	v_mul_f32_e32 v153, v156, v139
	v_mov_b32_e32 v23, v3
	v_mov_b32_e32 v31, v1
	v_pk_add_f32 v[148:149], v[198:199], v[254:255]
	v_pk_add_f32 v[198:199], v[198:199], v[254:255] neg_lo:[0,1] neg_hi:[0,1]
	v_pk_add_f32 v[254:255], v[160:161], v[152:153]
	v_mov_b32_e32 v157, v160
	v_pk_add_f32 v[160:161], v[22:23], v[30:31]
	v_mov_b32_e32 v0, v1
	v_mov_b32_e32 v1, v160
	;; [unrolled: 1-line block ×4, first 2 shown]
	v_pk_add_f32 v[0:1], v[0:1], v[2:3]
	v_pk_add_f32 v[2:3], v[254:255], v[6:7]
	v_mov_b32_e32 v156, v7
	v_mov_b32_e32 v153, v152
	;; [unrolled: 1-line block ×5, first 2 shown]
	v_pk_add_f32 v[2:3], v[2:3], v[0:1]
	v_pk_add_f32 v[152:153], v[156:157], v[152:153] neg_lo:[0,1] neg_hi:[0,1]
	v_pk_add_f32 v[22:23], v[22:23], v[30:31] neg_lo:[0,1] neg_hi:[0,1]
	v_pk_add_f32 v[30:31], v[144:145], v[2:3]
	ds_write2_b64 v172, v[18:19], v[30:31] offset0:4 offset1:200
	v_pk_fma_f32 v[2:3], v[2:3], s[12:13], v[30:31] op_sel_hi:[1,0,1] neg_lo:[1,0,0] neg_hi:[1,0,0]
	v_mov_b32_e32 v18, v0
	v_mov_b32_e32 v19, v148
	;; [unrolled: 1-line block ×4, first 2 shown]
	v_pk_add_f32 v[18:19], v[18:19], v[254:255] neg_lo:[0,1] neg_hi:[0,1]
	v_mov_b32_e32 v1, v160
	v_pk_add_f32 v[30:31], v[30:31], v[22:23] neg_lo:[0,1] neg_hi:[0,1]
	v_mov_b32_e32 v144, v198
	v_mov_b32_e32 v145, v23
	v_pk_add_f32 v[0:1], v[6:7], v[0:1] neg_lo:[0,1] neg_hi:[0,1]
	v_pk_add_f32 v[144:145], v[144:145], v[152:153] neg_lo:[0,1] neg_hi:[0,1]
	v_pk_add_f32 v[156:157], v[22:23], v[152:153]
	v_pk_mul_f32 v[18:19], v[18:19], s[8:9]
	v_pk_mul_f32 v[30:31], v[30:31], s[20:21]
	v_pk_add_f32 v[156:157], v[156:157], v[198:199]
	v_pk_fma_f32 v[252:253], v[0:1], s[6:7], v[18:19]
	v_pk_fma_f32 v[192:193], v[144:145], s[18:19], v[30:31]
	v_pk_add_f32 v[252:253], v[252:253], v[2:3]
	v_pk_fma_f32 v[192:193], v[156:157], s[16:17], v[192:193] op_sel_hi:[1,0,1]
	v_pk_mul_f32 v[144:145], v[144:145], s[18:19]
	v_pk_add_f32 v[8:9], v[252:253], v[192:193]
	v_pk_add_f32 v[192:193], v[252:253], v[192:193] neg_lo:[0,1] neg_hi:[0,1]
	v_mov_b32_e32 v252, v16
	v_mov_b32_e32 v253, v15
	;; [unrolled: 1-line block ×4, first 2 shown]
	ds_write2_b64 v61, v[252:253], v[4:5] offset0:20 offset1:216
	v_pk_add_f32 v[4:5], v[238:239], v[218:219] neg_lo:[0,1] neg_hi:[0,1]
	v_mov_b32_e32 v218, v12
	v_mov_b32_e32 v219, v247
	;; [unrolled: 1-line block ×3, first 2 shown]
	v_pk_fma_f32 v[218:219], v[4:5], s[14:15], v[218:219] op_sel_hi:[1,0,1] neg_lo:[1,0,1] neg_hi:[1,0,1]
	v_pk_fma_f32 v[4:5], v[4:5], s[14:15], v[246:247] op_sel_hi:[1,0,1] neg_lo:[0,0,1] neg_hi:[0,0,1]
	v_pk_fma_f32 v[218:219], v[142:143], s[16:17], v[218:219] op_sel_hi:[1,0,1]
	v_mov_b32_e32 v23, v153
	v_mov_b32_e32 v152, v144
	;; [unrolled: 1-line block ×3, first 2 shown]
	v_pk_fma_f32 v[4:5], v[142:143], s[16:17], v[4:5] op_sel_hi:[1,0,1]
	v_mov_b32_e32 v31, v145
	global_load_dwordx4 v[142:145], v[34:35], off offset:16
	v_mov_b32_e32 v255, v160
	v_mov_b32_e32 v7, v148
	v_pk_mul_f32 v[0:1], v[0:1], s[6:7]
	v_pk_add_f32 v[6:7], v[254:255], v[6:7] neg_lo:[0,1] neg_hi:[0,1]
	v_pk_add_f32 v[22:23], v[22:23], v[198:199] neg_lo:[0,1] neg_hi:[0,1]
	v_mov_b32_e32 v148, v0
	v_mov_b32_e32 v149, v19
	;; [unrolled: 1-line block ×3, first 2 shown]
	v_pk_fma_f32 v[148:149], v[6:7], s[2:3], v[148:149] op_sel_hi:[1,0,1] neg_lo:[1,0,1] neg_hi:[1,0,1]
	v_pk_fma_f32 v[152:153], v[22:23], s[14:15], v[152:153] op_sel_hi:[1,0,1] neg_lo:[1,0,1] neg_hi:[1,0,1]
	;; [unrolled: 1-line block ×4, first 2 shown]
	v_mov_b32_e32 v15, v17
	v_pk_add_f32 v[16:17], v[24:25], v[32:33] neg_lo:[0,1] neg_hi:[0,1]
	v_mov_b32_e32 v23, v168
	v_mov_b32_e32 v22, v171
	;; [unrolled: 1-line block ×4, first 2 shown]
	v_pk_add_f32 v[148:149], v[148:149], v[2:3]
	v_pk_add_f32 v[0:1], v[0:1], v[2:3]
	v_pk_fma_f32 v[2:3], v[156:157], s[16:17], v[6:7] op_sel_hi:[1,0,1]
	v_pk_add_f32 v[18:19], v[28:29], v[26:27] neg_lo:[0,1] neg_hi:[0,1]
	v_pk_add_f32 v[22:23], v[22:23], v[24:25] neg_lo:[0,1] neg_hi:[0,1]
	v_accvgpr_read_b32 v24, a164
	v_accvgpr_read_b32 v26, a166
	v_pk_add_f32 v[12:13], v[10:11], v[4:5] neg_lo:[0,1] neg_hi:[0,1]
	v_pk_add_f32 v[4:5], v[10:11], v[4:5]
	v_pk_add_f32 v[6:7], v[0:1], v[2:3] neg_lo:[0,1] neg_hi:[0,1]
	v_pk_add_f32 v[0:1], v[0:1], v[2:3]
	v_accvgpr_read_b32 v25, a165
	v_accvgpr_read_b32 v27, a167
	v_pk_fma_f32 v[152:153], v[156:157], s[16:17], v[152:153] op_sel_hi:[1,0,1]
	v_mov_b32_e32 v2, v12
	v_mov_b32_e32 v3, v5
	;; [unrolled: 1-line block ×6, first 2 shown]
	v_pk_fma_f32 v[24:25], v[24:25], s[12:13], v[26:27] op_sel_hi:[1,0,1] neg_lo:[1,0,0] neg_hi:[1,0,0]
	v_mov_b32_e32 v26, v16
	v_mov_b32_e32 v27, v19
	;; [unrolled: 1-line block ×6, first 2 shown]
	v_pk_add_f32 v[236:237], v[202:203], v[218:219]
	v_pk_add_f32 v[202:203], v[202:203], v[218:219] neg_lo:[0,1] neg_hi:[0,1]
	v_pk_add_f32 v[160:161], v[148:149], v[152:153]
	v_pk_add_f32 v[148:149], v[148:149], v[152:153] neg_lo:[0,1] neg_hi:[0,1]
	ds_write2_b64 v187, v[2:3], v[10:11] offset0:52 offset1:248
	v_mov_b32_e32 v5, v13
	v_pk_add_f32 v[26:27], v[26:27], v[22:23] neg_lo:[0,1] neg_hi:[0,1]
	v_pk_add_f32 v[28:29], v[28:29], v[18:19] neg_lo:[0,1] neg_hi:[0,1]
	v_pk_add_f32 v[30:31], v[18:19], v[22:23]
	v_pk_add_f32 v[32:33], v[32:33], v[178:179] neg_lo:[0,1] neg_hi:[0,1]
	v_pk_add_f32 v[34:35], v[170:171], v[176:177] neg_lo:[0,1] neg_hi:[0,1]
	v_mov_b32_e32 v10, v175
	v_mov_b32_e32 v12, v21
	;; [unrolled: 1-line block ×7, first 2 shown]
	v_pk_mul_f32 v[28:29], v[28:29], s[20:21]
	v_pk_mul_f32 v[32:33], v[32:33], s[8:9]
	v_mov_b32_e32 v179, v188
	v_mov_b32_e32 v171, v186
	v_pk_mul_f32 v[22:23], v[34:35], s[6:7]
	ds_write2_b64 v208, v[202:203], v[148:149] offset0:20 offset1:216
	v_pk_add_f32 v[30:31], v[30:31], v[16:17]
	v_pk_fma_f32 v[38:39], v[34:35], s[6:7], v[32:33]
	v_pk_fma_f32 v[148:149], v[26:27], s[18:19], v[28:29]
	v_mov_b32_e32 v35, v29
	v_mov_b32_e32 v1, v7
	;; [unrolled: 1-line block ×3, first 2 shown]
	ds_write2_b64 v189, v[4:5], v[0:1] offset0:4 offset1:200
	ds_write2_b64 v201, v[14:15], v[192:193] offset0:36 offset1:232
	v_mul_f32_e32 v2, v163, v129
	v_mov_b32_e32 v14, v163
	s_waitcnt vmcnt(0)
	v_mul_f32_e32 v11, v151, v144
	v_mul_f32_e32 v13, v150, v145
	v_pk_add_f32 v[10:11], v[10:11], v[12:13]
	v_pk_add_f32 v[12:13], v[18:19], v[16:17] neg_lo:[0,1] neg_hi:[0,1]
	v_pk_mul_f32 v[18:19], v[26:27], s[18:19]
	v_pk_add_f32 v[16:17], v[178:179], v[170:171] neg_lo:[0,1] neg_hi:[0,1]
	v_mov_b32_e32 v26, v22
	v_mov_b32_e32 v27, v33
	;; [unrolled: 1-line block ×3, first 2 shown]
	v_pk_fma_f32 v[26:27], v[16:17], s[2:3], v[26:27] op_sel_hi:[1,0,1] neg_lo:[1,0,1] neg_hi:[1,0,1]
	v_pk_fma_f32 v[34:35], v[12:13], s[14:15], v[34:35] op_sel_hi:[1,0,1] neg_lo:[1,0,1] neg_hi:[1,0,1]
	v_mov_b32_e32 v163, v151
	v_mov_b32_e32 v0, v129
	;; [unrolled: 1-line block ×3, first 2 shown]
	v_pk_add_f32 v[38:39], v[38:39], v[24:25]
	v_pk_fma_f32 v[148:149], v[30:31], s[16:17], v[148:149] op_sel_hi:[1,0,1]
	v_pk_add_f32 v[26:27], v[26:27], v[24:25]
	v_pk_fma_f32 v[34:35], v[30:31], s[16:17], v[34:35] op_sel_hi:[1,0,1]
	v_pk_mul_f32 v[0:1], v[162:163], v[0:1]
	v_mov_b32_e32 v4, v155
	v_mul_f32_e32 v6, v155, v107
	v_mov_b32_e32 v155, v159
	v_mov_b32_e32 v8, v107
	;; [unrolled: 1-line block ×4, first 2 shown]
	v_pk_add_f32 v[150:151], v[38:39], v[148:149]
	v_pk_add_f32 v[38:39], v[38:39], v[148:149] neg_lo:[0,1] neg_hi:[0,1]
	v_pk_add_f32 v[148:149], v[26:27], v[34:35]
	v_pk_add_f32 v[26:27], v[26:27], v[34:35] neg_lo:[0,1] neg_hi:[0,1]
	v_mov_b32_e32 v34, v128
	v_mov_b32_e32 v35, v144
	;; [unrolled: 1-line block ×4, first 2 shown]
	v_accvgpr_read_b32 v218, a61
	v_fma_f32 v2, v162, v128, -v2
	v_mul_f32_e32 v3, v159, v142
	v_mov_b32_e32 v5, v158
	v_mul_f32_e32 v7, v158, v143
	v_fma_f32 v6, v154, v106, -v6
	v_pk_mul_f32 v[8:9], v[154:155], v[8:9]
	v_pk_fma_f32 v[34:35], v[14:15], v[34:35], v[0:1] neg_lo:[0,0,1] neg_hi:[0,0,1]
	v_pk_fma_f32 v[0:1], v[14:15], v[128:129], v[0:1]
	v_mov_b32_e32 v14, v106
	v_mov_b32_e32 v15, v142
	ds_write2_b64 v218, v[152:153], v[198:199] offset0:36 offset1:232
	v_pk_fma_f32 v[14:15], v[4:5], v[14:15], v[8:9] neg_lo:[0,0,1] neg_hi:[0,0,1]
	v_pk_fma_f32 v[4:5], v[4:5], v[106:107], v[8:9]
	v_pk_add_f32 v[152:153], v[2:3], v[6:7]
	v_mov_b32_e32 v3, v2
	v_mov_b32_e32 v2, v11
	;; [unrolled: 1-line block ×6, first 2 shown]
	v_pk_add_f32 v[8:9], v[164:165], v[20:21]
	v_pk_add_f32 v[2:3], v[2:3], v[6:7] neg_lo:[0,1] neg_hi:[0,1]
	v_pk_add_f32 v[6:7], v[0:1], v[4:5]
	v_pk_add_f32 v[0:1], v[0:1], v[4:5] neg_lo:[0,1] neg_hi:[0,1]
	v_mov_b32_e32 v4, v15
	v_mov_b32_e32 v5, v6
	;; [unrolled: 1-line block ×4, first 2 shown]
	v_pk_add_f32 v[4:5], v[4:5], v[14:15]
	v_pk_add_f32 v[14:15], v[152:153], v[10:11]
	v_add_u32_e32 v157, 0x1200, v244
	v_mov_b32_e32 v153, v15
	v_mov_b32_e32 v11, v15
	v_pk_add_f32 v[14:15], v[14:15], v[4:5]
	v_pk_add_f32 v[20:21], v[164:165], v[20:21] neg_lo:[0,1] neg_hi:[0,1]
	v_pk_add_f32 v[34:35], v[146:147], v[14:15]
	v_mov_b32_e32 v146, v150
	v_mov_b32_e32 v147, v39
	ds_write2_b64 v157, v[34:35], v[146:147] offset0:12 offset1:208
	v_pk_fma_f32 v[14:15], v[14:15], s[12:13], v[34:35] op_sel_hi:[1,0,1] neg_lo:[1,0,0] neg_hi:[1,0,0]
	v_mov_b32_e32 v34, v4
	v_mov_b32_e32 v35, v8
	v_pk_add_f32 v[34:35], v[34:35], v[152:153] neg_lo:[0,1] neg_hi:[0,1]
	v_mov_b32_e32 v5, v6
	v_mov_b32_e32 v146, v2
	;; [unrolled: 1-line block ×5, first 2 shown]
	v_pk_add_f32 v[4:5], v[10:11], v[4:5] neg_lo:[0,1] neg_hi:[0,1]
	v_pk_add_f32 v[146:147], v[146:147], v[0:1] neg_lo:[0,1] neg_hi:[0,1]
	v_pk_add_f32 v[154:155], v[154:155], v[2:3] neg_lo:[0,1] neg_hi:[0,1]
	v_pk_add_f32 v[158:159], v[0:1], v[2:3]
	v_pk_mul_f32 v[34:35], v[34:35], s[8:9]
	v_pk_add_f32 v[160:161], v[158:159], v[20:21]
	v_pk_mul_f32 v[146:147], v[146:147], s[20:21]
	v_pk_fma_f32 v[158:159], v[4:5], s[6:7], v[34:35]
	v_mov_b32_e32 v153, v6
	v_mov_b32_e32 v11, v8
	v_mov_b32_e32 v1, v3
	v_pk_mul_f32 v[2:3], v[4:5], s[6:7]
	v_pk_mul_f32 v[4:5], v[154:155], s[18:19]
	v_pk_fma_f32 v[162:163], v[154:155], s[18:19], v[146:147]
	v_pk_add_f32 v[6:7], v[152:153], v[10:11] neg_lo:[0,1] neg_hi:[0,1]
	v_pk_add_f32 v[0:1], v[0:1], v[20:21] neg_lo:[0,1] neg_hi:[0,1]
	v_mov_b32_e32 v9, v35
	v_mov_b32_e32 v10, v4
	;; [unrolled: 1-line block ×6, first 2 shown]
	v_pk_fma_f32 v[10:11], v[0:1], s[14:15], v[10:11] op_sel_hi:[1,0,1] neg_lo:[1,0,1] neg_hi:[1,0,1]
	v_pk_fma_f32 v[2:3], v[6:7], s[2:3], v[34:35] op_sel_hi:[1,0,1] neg_lo:[0,0,1] neg_hi:[0,0,1]
	;; [unrolled: 1-line block ×3, first 2 shown]
	v_mov_b32_e32 v33, v23
	v_mov_b32_e32 v29, v19
	v_pk_add_f32 v[2:3], v[2:3], v[14:15]
	v_pk_fma_f32 v[0:1], v[160:161], s[16:17], v[0:1] op_sel_hi:[1,0,1]
	v_pk_add_f32 v[158:159], v[158:159], v[14:15]
	v_pk_fma_f32 v[162:163], v[160:161], s[16:17], v[162:163] op_sel_hi:[1,0,1]
	v_pk_fma_f32 v[16:17], v[16:17], s[2:3], v[32:33] op_sel_hi:[1,0,1] neg_lo:[0,0,1] neg_hi:[0,0,1]
	v_pk_fma_f32 v[12:13], v[12:13], s[14:15], v[28:29] op_sel_hi:[1,0,1] neg_lo:[0,0,1] neg_hi:[0,0,1]
	;; [unrolled: 1-line block ×3, first 2 shown]
	v_pk_add_f32 v[4:5], v[2:3], v[0:1] neg_lo:[0,1] neg_hi:[0,1]
	v_pk_add_f32 v[0:1], v[2:3], v[0:1]
	v_pk_add_f32 v[164:165], v[158:159], v[162:163]
	v_pk_add_f32 v[168:169], v[158:159], v[162:163] neg_lo:[0,1] neg_hi:[0,1]
	v_mov_b32_e32 v163, v27
	v_pk_add_f32 v[16:17], v[16:17], v[24:25]
	v_pk_fma_f32 v[12:13], v[30:31], s[16:17], v[12:13] op_sel_hi:[1,0,1]
	v_pk_add_f32 v[8:9], v[8:9], v[14:15]
	v_pk_fma_f32 v[10:11], v[160:161], s[16:17], v[10:11] op_sel_hi:[1,0,1]
	v_mov_b32_e32 v3, v1
	v_mov_b32_e32 v27, v149
	;; [unrolled: 1-line block ×3, first 2 shown]
	v_add_u32_e32 v161, 0x7400, v244
	v_mov_b32_e32 v162, v148
	v_mov_b32_e32 v170, v164
	v_mov_b32_e32 v171, v169
	v_add_u32_e32 v158, 0x2a00, v244
	v_pk_add_f32 v[18:19], v[16:17], v[12:13] neg_lo:[0,1] neg_hi:[0,1]
	v_pk_add_f32 v[12:13], v[16:17], v[12:13]
	v_pk_add_f32 v[16:17], v[8:9], v[10:11]
	v_pk_add_f32 v[8:9], v[8:9], v[10:11] neg_lo:[0,1] neg_hi:[0,1]
	ds_write2_b64 v161, v[0:1], v[26:27] offset0:12 offset1:208
	v_accvgpr_read_b32 v0, a96
	ds_write2_b64 v158, v[170:171], v[162:163] offset0:28 offset1:224
	v_mov_b32_e32 v10, v18
	v_mov_b32_e32 v11, v13
	v_mov_b32_e32 v20, v16
	v_mov_b32_e32 v21, v9
	v_add_u32_e32 v159, 0x4200, v244
	v_mov_b32_e32 v13, v19
	v_mov_b32_e32 v2, v4
	v_add_u32_e32 v160, 0x5b00, v244
	v_mov_b32_e32 v39, v151
	v_mov_b32_e32 v9, v17
	v_add_u32_e32 v162, 0x8c00, v244
	v_mov_b32_e32 v169, v165
	v_accvgpr_read_b32 v1, a97
	ds_write2_b64 v159, v[20:21], v[10:11] offset0:44 offset1:240
	ds_write2_b64 v160, v[2:3], v[12:13] offset0:28 offset1:224
	;; [unrolled: 1-line block ×3, first 2 shown]
	ds_write_b64 v244, v[168:169] offset:42336
	s_waitcnt lgkmcnt(0)
	s_barrier
	global_load_dwordx2 v[0:1], v[0:1], off offset:2944
	v_lshl_add_u64 v[2:3], v[230:231], 0, s[10:11]
	global_load_dwordx2 v[8:9], v[2:3], off offset:1568
	s_nop 0
	global_load_dwordx2 v[2:3], v[2:3], off offset:3136
	ds_read2_b64 v[4:7], v244 offset1:196
	s_mov_b32 s3, 0xc000
	v_accvgpr_read_b32 v173, a85
	v_accvgpr_read_b32 v163, a84
	;; [unrolled: 1-line block ×6, first 2 shown]
	s_mov_b32 s16, 0xbeae86e6
	s_mov_b32 s17, 0x3f08b237
	;; [unrolled: 1-line block ×6, first 2 shown]
	v_accvgpr_read_b32 v203, a3
	v_accvgpr_read_b32 v219, a63
	v_accvgpr_read_b32 v202, a1
	s_waitcnt vmcnt(2) lgkmcnt(0)
	v_mul_f32_e32 v10, v5, v1
	v_mul_f32_e32 v11, v4, v1
	v_fma_f32 v10, v4, v0, -v10
	v_fmac_f32_e32 v11, v5, v0
	s_waitcnt vmcnt(1)
	v_mul_f32_e32 v0, v7, v9
	v_fma_f32 v0, v6, v8, -v0
	v_mul_f32_e32 v1, v6, v9
	v_add_co_u32_e32 v6, vcc, s3, v230
	v_fmac_f32_e32 v1, v7, v8
	s_nop 0
	v_addc_co_u32_e32 v7, vcc, 0, v231, vcc
	global_load_dwordx2 v[8:9], v[6:7], off offset:1024
	global_load_dwordx2 v[14:15], v[6:7], off offset:2592
	ds_write_b64 v244, v[10:11]
	ds_read2_b64 v[10:13], v73 offset0:16 offset1:212
	s_mov_b32 s3, 0xd000
	v_add_co_u32_e32 v16, vcc, s3, v230
	s_mov_b32 s3, 0xe000
	s_nop 0
	v_addc_co_u32_e32 v17, vcc, 0, v231, vcc
	v_add_co_u32_e32 v24, vcc, s3, v230
	s_mov_b32 s3, 0xf000
	s_nop 0
	v_addc_co_u32_e32 v25, vcc, 0, v231, vcc
	s_waitcnt vmcnt(1) lgkmcnt(0)
	v_mul_f32_e32 v4, v11, v9
	v_mul_f32_e32 v5, v10, v9
	v_fma_f32 v4, v10, v8, -v4
	v_fmac_f32_e32 v5, v11, v8
	global_load_dwordx2 v[10:11], v[16:17], off offset:64
	global_load_dwordx2 v[8:9], v[16:17], off offset:1632
	;; [unrolled: 1-line block ×3, first 2 shown]
	s_waitcnt vmcnt(3)
	v_mul_f32_e32 v6, v13, v15
	v_mul_f32_e32 v7, v12, v15
	v_fma_f32 v6, v12, v14, -v6
	v_fmac_f32_e32 v7, v13, v14
	ds_read2_b64 v[14:17], v105 offset0:32 offset1:228
	s_waitcnt vmcnt(0) lgkmcnt(0)
	v_mul_f32_e32 v12, v15, v19
	v_mul_f32_e32 v13, v14, v19
	v_fma_f32 v12, v14, v18, -v12
	v_fmac_f32_e32 v13, v15, v18
	global_load_dwordx2 v[18:19], v[24:25], off offset:672
	global_load_dwordx2 v[146:147], v[24:25], off offset:2240
	s_waitcnt vmcnt(1)
	v_mul_f32_e32 v14, v17, v19
	v_fma_f32 v14, v16, v18, -v14
	v_mul_f32_e32 v15, v16, v19
	v_add_co_u32_e32 v16, vcc, s3, v230
	v_fmac_f32_e32 v15, v17, v18
	s_nop 0
	v_addc_co_u32_e32 v17, vcc, 0, v231, vcc
	global_load_dwordx2 v[26:27], v[16:17], off offset:1280
	global_load_dwordx2 v[28:29], v[16:17], off offset:2848
	s_mov_b32 s3, 0x10000
	v_add_co_u32_e32 v30, vcc, s3, v230
	s_mov_b32 s3, 0x12000
	s_nop 0
	v_addc_co_u32_e32 v31, vcc, 0, v231, vcc
	global_load_dwordx2 v[148:149], v[30:31], off offset:320
	global_load_dwordx2 v[38:39], v[30:31], off offset:1888
	ds_read2_b64 v[20:23], v173 offset0:48 offset1:244
	s_waitcnt vmcnt(3) lgkmcnt(0)
	v_mul_f32_e32 v16, v21, v27
	v_fma_f32 v18, v20, v26, -v16
	s_waitcnt vmcnt(2)
	v_mul_f32_e32 v16, v23, v29
	v_mul_f32_e32 v17, v22, v29
	v_fma_f32 v16, v22, v28, -v16
	v_fmac_f32_e32 v17, v23, v28
	global_load_dwordx2 v[22:23], v[30:31], off offset:3456
	v_mul_f32_e32 v19, v20, v27
	v_add_co_u32_e32 v20, vcc, s3, v230
	v_fmac_f32_e32 v19, v21, v26
	s_nop 0
	v_addc_co_u32_e32 v21, vcc, 0, v231, vcc
	s_mov_b32 s3, 0x13000
	v_add_co_u32_e32 v26, vcc, s3, v230
	s_mov_b32 s3, 0x11000
	s_nop 0
	v_addc_co_u32_e32 v27, vcc, 0, v231, vcc
	global_load_dwordx2 v[28:29], v[20:21], off offset:1536
	global_load_dwordx2 v[30:31], v[20:21], off offset:3104
	;; [unrolled: 1-line block ×3, first 2 shown]
	ds_read2_b64 v[150:153], v97 offset1:196
	s_waitcnt vmcnt(3) lgkmcnt(0)
	v_mul_f32_e32 v20, v151, v23
	v_mul_f32_e32 v21, v150, v23
	v_fma_f32 v20, v150, v22, -v20
	v_fmac_f32_e32 v21, v151, v22
	v_add_co_u32_e32 v22, vcc, s3, v230
	s_mov_b32 s3, 0x14000
	s_nop 0
	v_addc_co_u32_e32 v23, vcc, 0, v231, vcc
	global_load_dwordx2 v[32:33], v[22:23], off offset:928
	global_load_dwordx2 v[34:35], v[22:23], off offset:2496
	;; [unrolled: 1-line block ×3, first 2 shown]
	s_nop 0
	global_load_dwordx2 v[24:25], v[24:25], off offset:3808
	ds_read2_b64 v[168:171], v163 offset0:16 offset1:212
	s_waitcnt vmcnt(5) lgkmcnt(0)
	v_mul_f32_e32 v23, v170, v31
	v_fmac_f32_e32 v23, v171, v30
	s_waitcnt vmcnt(3)
	v_mul_f32_e32 v22, v153, v33
	v_mul_f32_e32 v151, v152, v33
	v_fma_f32 v150, v152, v32, -v22
	v_fmac_f32_e32 v151, v153, v32
	v_mul_f32_e32 v22, v169, v29
	v_mul_f32_e32 v153, v168, v29
	v_fma_f32 v152, v168, v28, -v22
	v_fmac_f32_e32 v153, v169, v28
	global_load_dwordx2 v[28:29], v[26:27], off offset:3712
	s_nop 0
	global_load_dwordx2 v[26:27], v[26:27], off offset:2144
	v_mul_f32_e32 v22, v171, v31
	v_fma_f32 v22, v170, v30, -v22
	ds_read2_b64 v[168:171], v200 offset0:32 offset1:228
	s_waitcnt vmcnt(1) lgkmcnt(0)
	v_mul_f32_e32 v30, v169, v29
	v_mul_f32_e32 v31, v168, v29
	v_fma_f32 v30, v168, v28, -v30
	v_fmac_f32_e32 v31, v169, v28
	v_add_co_u32_e32 v28, vcc, s3, v230
	s_mov_b32 s3, 0xb000
	s_nop 0
	v_addc_co_u32_e32 v29, vcc, 0, v231, vcc
	v_add_co_u32_e32 v32, vcc, s3, v230
	s_mov_b32 s3, 0x15000
	s_nop 0
	v_addc_co_u32_e32 v33, vcc, 0, v231, vcc
	v_add_co_u32_e32 v168, vcc, s3, v230
	s_nop 1
	v_addc_co_u32_e32 v169, vcc, 0, v231, vcc
	global_load_dwordx2 v[32:33], v[32:33], off offset:3552
	s_nop 0
	global_load_dwordx2 v[174:175], v[28:29], off offset:1184
	s_nop 0
	global_load_dwordx2 v[28:29], v[28:29], off offset:2752
	s_nop 0
	global_load_dwordx2 v[176:177], v[168:169], off offset:224
	s_waitcnt vmcnt(2)
	v_mul_f32_e32 v156, v171, v175
	v_mul_f32_e32 v179, v170, v175
	v_fma_f32 v178, v170, v174, -v156
	v_fmac_f32_e32 v179, v171, v174
	ds_read2_b64 v[168:171], v85 offset0:8 offset1:204
	s_waitcnt lgkmcnt(0)
	v_mul_f32_e32 v156, v169, v3
	v_mul_f32_e32 v175, v168, v3
	v_fma_f32 v174, v168, v2, -v156
	v_fmac_f32_e32 v175, v169, v2
	v_mul_f32_e32 v2, v171, v33
	v_mul_f32_e32 v3, v170, v33
	v_fma_f32 v2, v170, v32, -v2
	v_fmac_f32_e32 v3, v171, v32
	ds_read2_b64 v[168:171], v117 offset0:24 offset1:220
	s_waitcnt lgkmcnt(0)
	v_mul_f32_e32 v32, v169, v11
	v_mul_f32_e32 v33, v168, v11
	v_fma_f32 v32, v168, v10, -v32
	v_fmac_f32_e32 v33, v169, v10
	v_mul_f32_e32 v10, v171, v9
	v_mul_f32_e32 v169, v170, v9
	v_fma_f32 v168, v170, v8, -v10
	v_fmac_f32_e32 v169, v171, v8
	ds_read2_b64 v[8:11], v199 offset0:40 offset1:236
	s_waitcnt lgkmcnt(0)
	v_mul_f32_e32 v156, v9, v147
	v_fma_f32 v170, v8, v146, -v156
	v_mul_f32_e32 v171, v8, v147
	v_mul_f32_e32 v8, v11, v25
	v_mul_f32_e32 v147, v10, v25
	v_fmac_f32_e32 v171, v9, v146
	v_fma_f32 v146, v10, v24, -v8
	v_fmac_f32_e32 v147, v11, v24
	ds_read2_b64 v[8:11], v186 offset0:56 offset1:252
	s_waitcnt lgkmcnt(0)
	v_mul_f32_e32 v24, v9, v149
	v_fma_f32 v24, v8, v148, -v24
	v_mul_f32_e32 v25, v8, v149
	v_mul_f32_e32 v8, v11, v39
	v_mul_f32_e32 v149, v10, v39
	v_fmac_f32_e32 v25, v9, v148
	;; [unrolled: 10-line block ×4, first 2 shown]
	v_fma_f32 v154, v10, v26, -v8
	v_fmac_f32_e32 v155, v11, v26
	ds_read2_b64 v[8:11], v198 offset0:40 offset1:236
	ds_write2_b64 v172, v[0:1], v[174:175] offset0:4 offset1:200
	ds_write2_b64 v157, v[2:3], v[4:5] offset0:12 offset1:208
	;; [unrolled: 1-line block ×11, first 2 shown]
	s_waitcnt vmcnt(1) lgkmcnt(11)
	v_mul_f32_e32 v26, v9, v29
	v_mul_f32_e32 v27, v8, v29
	v_fma_f32 v26, v8, v28, -v26
	v_fmac_f32_e32 v27, v9, v28
	s_waitcnt vmcnt(0)
	v_mul_f32_e32 v8, v11, v177
	v_mul_f32_e32 v9, v10, v177
	v_fma_f32 v8, v10, v176, -v8
	v_fmac_f32_e32 v9, v11, v176
	ds_write2_b64 v208, v[22:23], v[164:165] offset0:20 offset1:216
	ds_write2_b64 v201, v[178:179], v[26:27] offset0:36 offset1:232
	ds_write_b64 v244, v[8:9] offset:42336
	s_waitcnt lgkmcnt(0)
	s_barrier
	ds_read2_b64 v[4:7], v73 offset0:16 offset1:212
	ds_read2_b64 v[8:11], v200 offset0:32 offset1:228
	v_accvgpr_read_b32 v61, a84
	v_accvgpr_read_b32 v201, a85
	;; [unrolled: 1-line block ×3, first 2 shown]
	s_waitcnt lgkmcnt(0)
	v_pk_add_f32 v[0:1], v[6:7], v[10:11]
	v_pk_add_f32 v[2:3], v[6:7], v[10:11] neg_lo:[0,1] neg_hi:[0,1]
	v_pk_add_f32 v[24:25], v[4:5], v[8:9]
	v_pk_add_f32 v[26:27], v[4:5], v[8:9] neg_lo:[0,1] neg_hi:[0,1]
	ds_read2_b64 v[4:7], v105 offset0:32 offset1:228
	ds_read2_b64 v[8:11], v163 offset0:16 offset1:212
	s_waitcnt lgkmcnt(0)
	v_pk_add_f32 v[16:17], v[6:7], v[10:11]
	v_pk_add_f32 v[18:19], v[6:7], v[10:11] neg_lo:[0,1] neg_hi:[0,1]
	v_pk_add_f32 v[28:29], v[4:5], v[8:9]
	v_pk_add_f32 v[30:31], v[4:5], v[8:9] neg_lo:[0,1] neg_hi:[0,1]
	ds_read2_b64 v[4:7], v173 offset0:48 offset1:244
	ds_read2_b64 v[8:11], v97 offset1:196
	v_mov_b32_e32 v165, v30
	s_waitcnt lgkmcnt(0)
	v_pk_add_f32 v[32:33], v[6:7], v[10:11]
	v_pk_add_f32 v[34:35], v[10:11], v[6:7] neg_lo:[0,1] neg_hi:[0,1]
	v_pk_add_f32 v[38:39], v[4:5], v[8:9]
	v_pk_add_f32 v[150:151], v[8:9], v[4:5] neg_lo:[0,1] neg_hi:[0,1]
	ds_read2_b64 v[8:11], v117 offset0:24 offset1:220
	ds_read2_b64 v[12:15], v198 offset0:40 offset1:236
	v_mov_b32_e32 v164, v151
	s_waitcnt lgkmcnt(0)
	v_pk_add_f32 v[6:7], v[8:9], v[12:13]
	v_pk_add_f32 v[8:9], v[8:9], v[12:13] neg_lo:[0,1] neg_hi:[0,1]
	v_pk_add_f32 v[4:5], v[10:11], v[14:15]
	v_pk_add_f32 v[10:11], v[10:11], v[14:15] neg_lo:[0,1] neg_hi:[0,1]
	ds_read2_b64 v[12:15], v199 offset0:40 offset1:236
	ds_read2_b64 v[20:23], v224 offset0:24 offset1:220
	s_waitcnt lgkmcnt(0)
	v_pk_add_f32 v[152:153], v[12:13], v[20:21]
	v_pk_add_f32 v[154:155], v[12:13], v[20:21] neg_lo:[0,1] neg_hi:[0,1]
	v_pk_add_f32 v[12:13], v[14:15], v[22:23]
	v_pk_add_f32 v[14:15], v[14:15], v[22:23] neg_lo:[0,1] neg_hi:[0,1]
	ds_read2_b64 v[20:23], v186 offset0:56 offset1:252
	ds_read2_b64 v[146:149], v188 offset0:8 offset1:204
	s_waitcnt lgkmcnt(0)
	v_pk_add_f32 v[156:157], v[20:21], v[146:147]
	v_pk_add_f32 v[158:159], v[146:147], v[20:21] neg_lo:[0,1] neg_hi:[0,1]
	v_pk_add_f32 v[160:161], v[22:23], v[148:149]
	v_pk_add_f32 v[162:163], v[148:149], v[22:23] neg_lo:[0,1] neg_hi:[0,1]
	v_mov_b32_e32 v20, v38
	v_mov_b32_e32 v21, v25
	;; [unrolled: 1-line block ×4, first 2 shown]
	v_pk_add_f32 v[20:21], v[20:21], v[22:23] neg_lo:[0,1] neg_hi:[0,1]
	v_pk_add_f32 v[22:23], v[28:29], v[24:25]
	v_mov_b32_e32 v148, v31
	v_pk_add_f32 v[146:147], v[38:39], v[22:23]
	v_mov_b32_e32 v22, v24
	v_mov_b32_e32 v23, v39
	;; [unrolled: 1-line block ×3, first 2 shown]
	v_pk_add_f32 v[38:39], v[22:23], v[38:39] neg_lo:[0,1] neg_hi:[0,1]
	v_mov_b32_e32 v22, v151
	v_mov_b32_e32 v23, v26
	;; [unrolled: 1-line block ×3, first 2 shown]
	v_pk_add_f32 v[22:23], v[22:23], v[148:149] neg_lo:[0,1] neg_hi:[0,1]
	v_mov_b32_e32 v148, v27
	v_pk_add_f32 v[164:165], v[148:149], v[164:165] neg_lo:[0,1] neg_hi:[0,1]
	v_pk_add_f32 v[148:149], v[150:151], v[30:31]
	v_pk_mul_f32 v[168:169], v[22:23], s[18:19]
	v_pk_add_f32 v[150:151], v[148:149], v[26:27]
	v_pk_fma_f32 v[148:149], v[164:165], s[16:17], v[168:169]
	v_pk_mul_f32 v[22:23], v[150:151], s[10:11] op_sel_hi:[1,0]
	v_pk_mul_f32 v[170:171], v[20:21], s[8:9]
	v_pk_add_f32 v[148:149], v[22:23], v[148:149] op_sel:[1,0] op_sel_hi:[0,1]
	ds_read2_b64 v[20:23], v244 offset1:196
	s_waitcnt lgkmcnt(0)
	v_pk_add_f32 v[20:21], v[20:21], v[146:147]
	s_nop 0
	v_pk_fma_f32 v[172:173], v[146:147], s[12:13], v[20:21] op_sel_hi:[1,0,1] neg_lo:[1,0,0] neg_hi:[1,0,0]
	v_pk_fma_f32 v[146:147], v[38:39], s[6:7], v[170:171]
	s_nop 0
	v_pk_add_f32 v[146:147], v[146:147], v[172:173]
	s_nop 0
	v_pk_add_f32 v[174:175], v[146:147], v[148:149]
	v_pk_add_f32 v[176:177], v[146:147], v[148:149] neg_lo:[0,1] neg_hi:[0,1]
	v_mov_b32_e32 v178, v174
	v_mov_b32_e32 v179, v177
	v_accvgpr_read_b32 v174, a78
	ds_read2_b64 v[146:149], v85 offset0:8 offset1:204
	s_waitcnt lgkmcnt(0)
	s_barrier
	ds_write2_b64 v174, v[20:21], v[178:179] offset1:1
	v_pk_add_f32 v[20:21], v[28:29], v[24:25] neg_lo:[0,1] neg_hi:[0,1]
	v_pk_add_f32 v[24:25], v[30:31], v[26:27] neg_lo:[0,1] neg_hi:[0,1]
	v_pk_mul_f32 v[26:27], v[38:39], s[6:7]
	v_pk_mul_f32 v[28:29], v[164:165], s[16:17]
	v_mov_b32_e32 v30, v26
	v_mov_b32_e32 v31, v171
	;; [unrolled: 1-line block ×7, first 2 shown]
	v_pk_fma_f32 v[30:31], v[20:21], s[2:3], v[30:31] op_sel_hi:[1,0,1] neg_lo:[1,0,1] neg_hi:[1,0,1]
	v_pk_fma_f32 v[38:39], v[24:25], s[14:15], v[38:39] op_sel_hi:[1,0,1] neg_lo:[1,0,1] neg_hi:[1,0,1]
	;; [unrolled: 1-line block ×4, first 2 shown]
	v_pk_add_f32 v[30:31], v[30:31], v[172:173]
	v_pk_fma_f32 v[38:39], v[150:151], s[10:11], v[38:39] op_sel_hi:[1,0,1]
	v_pk_add_f32 v[20:21], v[20:21], v[172:173]
	v_pk_fma_f32 v[24:25], v[150:151], s[10:11], v[24:25] op_sel_hi:[1,0,1]
	v_pk_add_f32 v[164:165], v[30:31], v[38:39] op_sel:[0,1] op_sel_hi:[1,0]
	v_pk_add_f32 v[30:31], v[30:31], v[38:39] op_sel:[0,1] op_sel_hi:[1,0] neg_lo:[0,1] neg_hi:[0,1]
	v_pk_add_f32 v[26:27], v[20:21], v[24:25] op_sel:[0,1] op_sel_hi:[1,0] neg_lo:[0,1] neg_hi:[0,1]
	v_pk_add_f32 v[20:21], v[20:21], v[24:25] op_sel:[0,1] op_sel_hi:[1,0]
	v_mov_b32_e32 v24, v164
	v_mov_b32_e32 v25, v31
	;; [unrolled: 1-line block ×4, first 2 shown]
	v_accvgpr_read_b32 v26, a78
	v_mov_b32_e32 v21, v27
	v_mov_b32_e32 v31, v165
	;; [unrolled: 1-line block ×3, first 2 shown]
	ds_write2_b64 v26, v[24:25], v[28:29] offset0:2 offset1:3
	ds_write2_b64 v26, v[20:21], v[30:31] offset0:4 offset1:5
	ds_write_b64 v26, v[176:177] offset:48
	v_pk_add_f32 v[20:21], v[16:17], v[0:1]
	v_mov_b32_e32 v24, v32
	v_mov_b32_e32 v25, v1
	;; [unrolled: 1-line block ×4, first 2 shown]
	v_pk_add_f32 v[20:21], v[32:33], v[20:21]
	v_pk_add_f32 v[24:25], v[24:25], v[26:27] neg_lo:[0,1] neg_hi:[0,1]
	v_mov_b32_e32 v26, v0
	v_mov_b32_e32 v33, v17
	;; [unrolled: 1-line block ×6, first 2 shown]
	v_pk_add_f32 v[26:27], v[26:27], v[32:33] neg_lo:[0,1] neg_hi:[0,1]
	v_pk_add_f32 v[28:29], v[28:29], v[30:31] neg_lo:[0,1] neg_hi:[0,1]
	v_mov_b32_e32 v30, v3
	v_mov_b32_e32 v32, v35
	;; [unrolled: 1-line block ×3, first 2 shown]
	v_pk_add_f32 v[30:31], v[30:31], v[32:33] neg_lo:[0,1] neg_hi:[0,1]
	v_pk_add_f32 v[32:33], v[34:35], v[18:19]
	v_pk_mul_f32 v[28:29], v[28:29], s[18:19]
	v_pk_add_f32 v[32:33], v[32:33], v[2:3]
	v_pk_add_f32 v[22:23], v[22:23], v[20:21]
	v_pk_mul_f32 v[34:35], v[32:33], s[10:11] op_sel_hi:[1,0]
	v_pk_fma_f32 v[38:39], v[30:31], s[16:17], v[28:29]
	v_pk_mul_f32 v[24:25], v[24:25], s[8:9]
	v_pk_add_f32 v[34:35], v[34:35], v[38:39] op_sel:[1,0] op_sel_hi:[0,1]
	v_pk_fma_f32 v[20:21], v[20:21], s[12:13], v[22:23] op_sel_hi:[1,0,1] neg_lo:[1,0,0] neg_hi:[1,0,0]
	v_pk_fma_f32 v[38:39], v[26:27], s[6:7], v[24:25]
	v_pk_add_f32 v[0:1], v[16:17], v[0:1] neg_lo:[0,1] neg_hi:[0,1]
	v_pk_add_f32 v[38:39], v[38:39], v[20:21]
	v_pk_add_f32 v[2:3], v[18:19], v[2:3] neg_lo:[0,1] neg_hi:[0,1]
	v_pk_add_f32 v[150:151], v[38:39], v[34:35]
	v_pk_add_f32 v[34:35], v[38:39], v[34:35] neg_lo:[0,1] neg_hi:[0,1]
	v_mov_b32_e32 v38, v150
	v_mov_b32_e32 v39, v35
	v_accvgpr_read_b32 v35, a73
	v_pk_mul_f32 v[16:17], v[26:27], s[6:7]
	v_pk_mul_f32 v[18:19], v[30:31], s[16:17]
	ds_write2_b64 v35, v[22:23], v[38:39] offset1:1
	v_mov_b32_e32 v22, v16
	v_mov_b32_e32 v23, v25
	;; [unrolled: 1-line block ×7, first 2 shown]
	v_pk_fma_f32 v[22:23], v[0:1], s[2:3], v[22:23] op_sel_hi:[1,0,1] neg_lo:[1,0,1] neg_hi:[1,0,1]
	v_pk_fma_f32 v[26:27], v[2:3], s[14:15], v[26:27] op_sel_hi:[1,0,1] neg_lo:[1,0,1] neg_hi:[1,0,1]
	;; [unrolled: 1-line block ×4, first 2 shown]
	v_pk_add_f32 v[22:23], v[22:23], v[20:21]
	v_pk_fma_f32 v[26:27], v[32:33], s[10:11], v[26:27] op_sel_hi:[1,0,1]
	v_pk_add_f32 v[0:1], v[0:1], v[20:21]
	v_pk_fma_f32 v[2:3], v[32:33], s[10:11], v[2:3] op_sel_hi:[1,0,1]
	v_pk_add_f32 v[30:31], v[22:23], v[26:27] op_sel:[0,1] op_sel_hi:[1,0]
	v_pk_add_f32 v[22:23], v[22:23], v[26:27] op_sel:[0,1] op_sel_hi:[1,0] neg_lo:[0,1] neg_hi:[0,1]
	v_pk_add_f32 v[16:17], v[0:1], v[2:3] op_sel:[0,1] op_sel_hi:[1,0] neg_lo:[0,1] neg_hi:[0,1]
	v_pk_add_f32 v[0:1], v[0:1], v[2:3] op_sel:[0,1] op_sel_hi:[1,0]
	v_mov_b32_e32 v2, v30
	v_mov_b32_e32 v3, v23
	;; [unrolled: 1-line block ×4, first 2 shown]
	v_accvgpr_read_b32 v16, a73
	ds_write2_b64 v16, v[2:3], v[18:19] offset0:2 offset1:3
	v_mov_b32_e32 v1, v17
	v_mov_b32_e32 v23, v31
	v_mov_b32_e32 v18, v159
	v_mov_b32_e32 v19, v8
	v_mov_b32_e32 v20, v155
	v_mov_b32_e32 v21, v158
	ds_write2_b64 v16, v[0:1], v[22:23] offset0:4 offset1:5
	v_pk_add_f32 v[18:19], v[18:19], v[20:21] neg_lo:[0,1] neg_hi:[0,1]
	v_mov_b32_e32 v20, v9
	v_mov_b32_e32 v22, v159
	;; [unrolled: 1-line block ×7, first 2 shown]
	v_pk_add_f32 v[20:21], v[20:21], v[22:23] neg_lo:[0,1] neg_hi:[0,1]
	v_pk_add_f32 v[22:23], v[158:159], v[154:155]
	v_mov_b32_e32 v35, v151
	v_pk_add_f32 v[0:1], v[0:1], v[2:3] neg_lo:[0,1] neg_hi:[0,1]
	v_pk_add_f32 v[2:3], v[152:153], v[6:7]
	v_pk_add_f32 v[22:23], v[22:23], v[8:9]
	v_pk_mul_f32 v[18:19], v[18:19], s[18:19]
	ds_write_b64 v16, v[34:35] offset:48
	v_pk_add_f32 v[2:3], v[156:157], v[2:3]
	v_mov_b32_e32 v16, v6
	v_mov_b32_e32 v17, v157
	;; [unrolled: 1-line block ×3, first 2 shown]
	v_pk_mul_f32 v[24:25], v[22:23], s[10:11] op_sel_hi:[1,0]
	v_pk_fma_f32 v[26:27], v[20:21], s[16:17], v[18:19]
	v_pk_add_f32 v[16:17], v[16:17], v[156:157] neg_lo:[0,1] neg_hi:[0,1]
	v_pk_add_f32 v[24:25], v[24:25], v[26:27] op_sel:[1,0] op_sel_hi:[0,1]
	v_pk_mul_f32 v[0:1], v[0:1], s[8:9]
	v_pk_add_f32 v[26:27], v[146:147], v[2:3]
	v_pk_fma_f32 v[28:29], v[16:17], s[6:7], v[0:1]
	v_pk_fma_f32 v[2:3], v[2:3], s[12:13], v[26:27] op_sel_hi:[1,0,1] neg_lo:[1,0,0] neg_hi:[1,0,0]
	v_pk_mul_f32 v[16:17], v[16:17], s[6:7]
	v_pk_add_f32 v[28:29], v[28:29], v[2:3]
	v_pk_add_f32 v[6:7], v[152:153], v[6:7] neg_lo:[0,1] neg_hi:[0,1]
	v_pk_add_f32 v[30:31], v[28:29], v[24:25]
	v_pk_add_f32 v[24:25], v[28:29], v[24:25] neg_lo:[0,1] neg_hi:[0,1]
	v_mov_b32_e32 v28, v30
	v_mov_b32_e32 v29, v25
	v_accvgpr_read_b32 v25, a65
	ds_write2_b64 v25, v[26:27], v[28:29] offset1:1
	v_pk_mul_f32 v[20:21], v[20:21], s[16:17]
	v_mov_b32_e32 v26, v16
	v_mov_b32_e32 v27, v1
	;; [unrolled: 1-line block ×3, first 2 shown]
	v_pk_add_f32 v[8:9], v[154:155], v[8:9] neg_lo:[0,1] neg_hi:[0,1]
	v_pk_fma_f32 v[26:27], v[6:7], s[2:3], v[26:27] op_sel_hi:[1,0,1] neg_lo:[1,0,1] neg_hi:[1,0,1]
	v_mov_b32_e32 v28, v19
	v_mov_b32_e32 v29, v20
	v_pk_fma_f32 v[0:1], v[6:7], s[2:3], v[0:1] op_sel_hi:[1,0,1] neg_lo:[0,0,1] neg_hi:[0,0,1]
	v_mov_b32_e32 v6, v21
	v_mov_b32_e32 v7, v18
	v_pk_fma_f32 v[28:29], v[8:9], s[14:15], v[28:29] op_sel_hi:[1,0,1] neg_lo:[1,0,1] neg_hi:[1,0,1]
	v_pk_fma_f32 v[6:7], v[8:9], s[14:15], v[6:7] op_sel_hi:[1,0,1] neg_lo:[0,0,1] neg_hi:[0,0,1]
	v_pk_add_f32 v[26:27], v[26:27], v[2:3]
	v_pk_fma_f32 v[28:29], v[22:23], s[10:11], v[28:29] op_sel_hi:[1,0,1]
	v_pk_add_f32 v[0:1], v[0:1], v[2:3]
	v_pk_fma_f32 v[2:3], v[22:23], s[10:11], v[6:7] op_sel_hi:[1,0,1]
	v_pk_add_f32 v[32:33], v[26:27], v[28:29] op_sel:[0,1] op_sel_hi:[1,0]
	v_pk_add_f32 v[26:27], v[26:27], v[28:29] op_sel:[0,1] op_sel_hi:[1,0] neg_lo:[0,1] neg_hi:[0,1]
	v_pk_add_f32 v[6:7], v[0:1], v[2:3] op_sel:[0,1] op_sel_hi:[1,0] neg_lo:[0,1] neg_hi:[0,1]
	v_pk_add_f32 v[0:1], v[0:1], v[2:3] op_sel:[0,1] op_sel_hi:[1,0]
	v_mov_b32_e32 v16, v163
	v_mov_b32_e32 v17, v10
	;; [unrolled: 1-line block ×8, first 2 shown]
	v_accvgpr_read_b32 v6, a65
	v_mov_b32_e32 v1, v7
	v_mov_b32_e32 v27, v33
	;; [unrolled: 1-line block ×3, first 2 shown]
	v_pk_add_f32 v[16:17], v[16:17], v[18:19] neg_lo:[0,1] neg_hi:[0,1]
	v_mov_b32_e32 v18, v11
	v_mov_b32_e32 v20, v163
	;; [unrolled: 1-line block ×3, first 2 shown]
	ds_write2_b64 v6, v[2:3], v[8:9] offset0:2 offset1:3
	ds_write2_b64 v6, v[0:1], v[26:27] offset0:4 offset1:5
	ds_write_b64 v6, v[24:25] offset:48
	v_pk_add_f32 v[0:1], v[12:13], v[4:5]
	v_mov_b32_e32 v6, v160
	v_mov_b32_e32 v7, v5
	;; [unrolled: 1-line block ×4, first 2 shown]
	v_pk_add_f32 v[18:19], v[18:19], v[20:21] neg_lo:[0,1] neg_hi:[0,1]
	v_pk_add_f32 v[20:21], v[162:163], v[14:15]
	v_pk_add_f32 v[0:1], v[160:161], v[0:1]
	v_pk_add_f32 v[6:7], v[6:7], v[8:9] neg_lo:[0,1] neg_hi:[0,1]
	v_mov_b32_e32 v8, v4
	v_mov_b32_e32 v161, v13
	v_pk_add_f32 v[20:21], v[20:21], v[10:11]
	v_pk_mul_f32 v[16:17], v[16:17], s[18:19]
	v_pk_add_f32 v[2:3], v[148:149], v[0:1]
	v_pk_add_f32 v[8:9], v[8:9], v[160:161] neg_lo:[0,1] neg_hi:[0,1]
	v_pk_mul_f32 v[22:23], v[20:21], s[10:11] op_sel_hi:[1,0]
	v_pk_fma_f32 v[24:25], v[18:19], s[16:17], v[16:17]
	v_pk_mul_f32 v[6:7], v[6:7], s[8:9]
	v_pk_add_f32 v[22:23], v[22:23], v[24:25] op_sel:[1,0] op_sel_hi:[0,1]
	v_pk_fma_f32 v[0:1], v[0:1], s[12:13], v[2:3] op_sel_hi:[1,0,1] neg_lo:[1,0,0] neg_hi:[1,0,0]
	v_pk_fma_f32 v[24:25], v[8:9], s[6:7], v[6:7]
	v_pk_mul_f32 v[8:9], v[8:9], s[6:7]
	v_pk_add_f32 v[24:25], v[24:25], v[0:1]
	s_nop 0
	v_pk_add_f32 v[26:27], v[24:25], v[22:23]
	v_pk_add_f32 v[22:23], v[24:25], v[22:23] neg_lo:[0,1] neg_hi:[0,1]
	v_mov_b32_e32 v24, v26
	v_mov_b32_e32 v25, v23
	v_accvgpr_read_b32 v23, a64
	ds_write2_b64 v23, v[2:3], v[24:25] offset1:1
	v_pk_add_f32 v[2:3], v[12:13], v[4:5] neg_lo:[0,1] neg_hi:[0,1]
	v_pk_add_f32 v[4:5], v[14:15], v[10:11] neg_lo:[0,1] neg_hi:[0,1]
	v_pk_mul_f32 v[10:11], v[18:19], s[16:17]
	v_mov_b32_e32 v12, v8
	v_mov_b32_e32 v13, v7
	;; [unrolled: 1-line block ×3, first 2 shown]
	v_pk_fma_f32 v[12:13], v[2:3], s[2:3], v[12:13] op_sel_hi:[1,0,1] neg_lo:[1,0,1] neg_hi:[1,0,1]
	v_mov_b32_e32 v14, v17
	v_mov_b32_e32 v15, v10
	v_pk_fma_f32 v[2:3], v[2:3], s[2:3], v[6:7] op_sel_hi:[1,0,1] neg_lo:[0,0,1] neg_hi:[0,0,1]
	v_mov_b32_e32 v6, v11
	v_mov_b32_e32 v7, v16
	v_pk_fma_f32 v[14:15], v[4:5], s[14:15], v[14:15] op_sel_hi:[1,0,1] neg_lo:[1,0,1] neg_hi:[1,0,1]
	v_pk_fma_f32 v[4:5], v[4:5], s[14:15], v[6:7] op_sel_hi:[1,0,1] neg_lo:[0,0,1] neg_hi:[0,0,1]
	v_pk_add_f32 v[12:13], v[12:13], v[0:1]
	v_pk_fma_f32 v[14:15], v[20:21], s[10:11], v[14:15] op_sel_hi:[1,0,1]
	v_pk_add_f32 v[0:1], v[2:3], v[0:1]
	v_pk_fma_f32 v[2:3], v[20:21], s[10:11], v[4:5] op_sel_hi:[1,0,1]
	v_pk_add_f32 v[18:19], v[12:13], v[14:15] op_sel:[0,1] op_sel_hi:[1,0]
	v_pk_add_f32 v[12:13], v[12:13], v[14:15] op_sel:[0,1] op_sel_hi:[1,0] neg_lo:[0,1] neg_hi:[0,1]
	v_pk_add_f32 v[4:5], v[0:1], v[2:3] op_sel:[0,1] op_sel_hi:[1,0] neg_lo:[0,1] neg_hi:[0,1]
	v_pk_add_f32 v[0:1], v[0:1], v[2:3] op_sel:[0,1] op_sel_hi:[1,0]
	v_mov_b32_e32 v2, v18
	v_mov_b32_e32 v3, v13
	;; [unrolled: 1-line block ×4, first 2 shown]
	v_accvgpr_read_b32 v4, a64
	v_mov_b32_e32 v1, v5
	v_mov_b32_e32 v13, v19
	;; [unrolled: 1-line block ×3, first 2 shown]
	ds_write2_b64 v4, v[2:3], v[6:7] offset0:2 offset1:3
	ds_write2_b64 v4, v[0:1], v[12:13] offset0:4 offset1:5
	ds_write_b64 v4, v[22:23] offset:48
	s_waitcnt lgkmcnt(0)
	s_barrier
	ds_read2_b64 v[0:3], v61 offset0:16 offset1:212
	v_accvgpr_read_b32 v8, a66
	v_accvgpr_read_b32 v9, a67
	s_waitcnt lgkmcnt(0)
	v_pk_mul_f32 v[4:5], v[8:9], v[2:3] op_sel:[1,0]
	s_nop 0
	v_pk_fma_f32 v[6:7], v[8:9], v[2:3], v[4:5] op_sel:[0,0,1] op_sel_hi:[1,1,0]
	v_pk_fma_f32 v[4:5], v[8:9], v[2:3], v[4:5] op_sel:[0,0,1] op_sel_hi:[0,1,0] neg_lo:[0,0,1] neg_hi:[0,0,1]
	v_mov_b32_e32 v2, v197
	v_pk_mul_f32 v[2:3], v[2:3], v[0:1] op_sel_hi:[0,1]
	v_pk_fma_f32 v[26:27], v[196:197], v[0:1], v[2:3] op_sel:[0,0,1] op_sel_hi:[1,1,0]
	v_pk_fma_f32 v[28:29], v[196:197], v[0:1], v[2:3] op_sel:[0,0,1] op_sel_hi:[0,1,0] neg_lo:[0,0,1] neg_hi:[0,0,1]
	ds_read2_b64 v[0:3], v201 offset0:48 offset1:244
	v_accvgpr_read_b32 v28, a70
	v_mov_b32_e32 v7, v5
	v_accvgpr_read_b32 v27, a90
	s_waitcnt lgkmcnt(0)
	v_mov_b32_e32 v4, v3
	v_pk_mul_f32 v[8:9], v[194:195], v[2:3] op_sel_hi:[1,0]
	s_nop 0
	v_pk_fma_f32 v[30:31], v[194:195], v[4:5], v[8:9] op_sel:[0,0,1] op_sel_hi:[1,1,0] neg_lo:[0,0,1] neg_hi:[0,0,1]
	v_pk_fma_f32 v[32:33], v[194:195], v[2:3], v[8:9] op_sel:[0,1,1] op_sel_hi:[1,1,0]
	v_mov_b32_e32 v2, v1
	v_pk_mul_f32 v[8:9], v[232:233], v[0:1] op_sel_hi:[1,0]
	v_mov_b32_e32 v4, v235
	v_pk_fma_f32 v[34:35], v[232:233], v[0:1], v[8:9] op_sel:[0,1,1] op_sel_hi:[1,1,0]
	v_pk_fma_f32 v[38:39], v[232:233], v[2:3], v[8:9] op_sel:[0,0,1] op_sel_hi:[1,1,0] neg_lo:[0,0,1] neg_hi:[0,0,1]
	ds_read2_b64 v[0:3], v28 offset0:8 offset1:204
	v_accvgpr_read_b32 v32, a71
	v_mov_b32_e32 v39, v35
	v_mov_b32_e32 v31, v33
	s_waitcnt lgkmcnt(0)
	v_pk_mul_f32 v[8:9], v[4:5], v[2:3] op_sel_hi:[0,1]
	v_pk_fma_f32 v[146:147], v[234:235], v[2:3], v[8:9] op_sel:[0,0,1] op_sel_hi:[1,1,0]
	v_pk_fma_f32 v[148:149], v[234:235], v[2:3], v[8:9] op_sel:[0,0,1] op_sel_hi:[0,1,0] neg_lo:[0,0,1] neg_hi:[0,0,1]
	v_mov_b32_e32 v2, v213
	v_pk_mul_f32 v[2:3], v[2:3], v[0:1] op_sel_hi:[0,1]
	v_pk_fma_f32 v[150:151], v[212:213], v[0:1], v[2:3] op_sel:[0,0,1] op_sel_hi:[1,1,0]
	v_pk_fma_f32 v[152:153], v[212:213], v[0:1], v[2:3] op_sel:[0,0,1] op_sel_hi:[0,1,0] neg_lo:[0,0,1] neg_hi:[0,0,1]
	ds_read2_b64 v[0:3], v199 offset0:40 offset1:236
	v_mov_b32_e32 v151, v153
	v_mov_b32_e32 v147, v149
	s_waitcnt lgkmcnt(0)
	v_mov_b32_e32 v4, v3
	v_pk_mul_f32 v[8:9], v[210:211], v[2:3] op_sel_hi:[1,0]
	s_nop 0
	v_pk_fma_f32 v[154:155], v[210:211], v[4:5], v[8:9] op_sel:[0,0,1] op_sel_hi:[1,1,0] neg_lo:[0,0,1] neg_hi:[0,0,1]
	v_pk_fma_f32 v[156:157], v[210:211], v[2:3], v[8:9] op_sel:[0,1,1] op_sel_hi:[1,1,0]
	v_mov_b32_e32 v2, v1
	v_pk_mul_f32 v[8:9], v[226:227], v[0:1] op_sel_hi:[1,0]
	v_mov_b32_e32 v4, v229
	v_pk_fma_f32 v[158:159], v[226:227], v[0:1], v[8:9] op_sel:[0,1,1] op_sel_hi:[1,1,0]
	v_pk_fma_f32 v[160:161], v[226:227], v[2:3], v[8:9] op_sel:[0,0,1] op_sel_hi:[1,1,0] neg_lo:[0,0,1] neg_hi:[0,0,1]
	ds_read2_b64 v[0:3], v97 offset1:196
	v_mov_b32_e32 v161, v159
	v_mov_b32_e32 v155, v157
	s_waitcnt lgkmcnt(0)
	v_pk_mul_f32 v[8:9], v[4:5], v[2:3] op_sel_hi:[0,1]
	v_pk_fma_f32 v[162:163], v[228:229], v[2:3], v[8:9] op_sel:[0,0,1] op_sel_hi:[1,1,0]
	v_pk_fma_f32 v[164:165], v[228:229], v[2:3], v[8:9] op_sel:[0,0,1] op_sel_hi:[0,1,0] neg_lo:[0,0,1] neg_hi:[0,0,1]
	v_mov_b32_e32 v2, v223
	v_pk_mul_f32 v[2:3], v[2:3], v[0:1] op_sel_hi:[0,1]
	v_pk_fma_f32 v[168:169], v[222:223], v[0:1], v[2:3] op_sel:[0,0,1] op_sel_hi:[1,1,0]
	v_pk_fma_f32 v[170:171], v[222:223], v[0:1], v[2:3] op_sel:[0,0,1] op_sel_hi:[0,1,0] neg_lo:[0,0,1] neg_hi:[0,0,1]
	ds_read2_b64 v[0:3], v105 offset0:32 offset1:228
	v_mov_b32_e32 v169, v171
	v_mov_b32_e32 v163, v165
	s_waitcnt lgkmcnt(0)
	v_mov_b32_e32 v4, v3
	v_pk_mul_f32 v[8:9], v[220:221], v[2:3] op_sel_hi:[1,0]
	s_nop 0
	v_pk_fma_f32 v[172:173], v[220:221], v[4:5], v[8:9] op_sel:[0,0,1] op_sel_hi:[1,1,0] neg_lo:[0,0,1] neg_hi:[0,0,1]
	v_pk_fma_f32 v[174:175], v[220:221], v[2:3], v[8:9] op_sel:[0,1,1] op_sel_hi:[1,1,0]
	v_mov_b32_e32 v2, v1
	v_pk_mul_f32 v[8:9], v[214:215], v[0:1] op_sel_hi:[1,0]
	v_mov_b32_e32 v4, v217
	v_pk_fma_f32 v[176:177], v[214:215], v[0:1], v[8:9] op_sel:[0,1,1] op_sel_hi:[1,1,0]
	v_pk_fma_f32 v[178:179], v[214:215], v[2:3], v[8:9] op_sel:[0,0,1] op_sel_hi:[1,1,0] neg_lo:[0,0,1] neg_hi:[0,0,1]
	ds_read2_b64 v[0:3], v32 offset0:56 offset1:252
	v_mov_b32_e32 v179, v177
	v_mov_b32_e32 v173, v175
	s_waitcnt lgkmcnt(0)
	v_pk_mul_f32 v[8:9], v[4:5], v[2:3] op_sel_hi:[0,1]
	v_pk_fma_f32 v[186:187], v[216:217], v[2:3], v[8:9] op_sel:[0,0,1] op_sel_hi:[1,1,0]
	v_pk_fma_f32 v[188:189], v[216:217], v[2:3], v[8:9] op_sel:[0,0,1] op_sel_hi:[0,1,0] neg_lo:[0,0,1] neg_hi:[0,0,1]
	v_mov_b32_e32 v2, v207
	v_pk_mul_f32 v[2:3], v[2:3], v[0:1] op_sel_hi:[0,1]
	v_pk_fma_f32 v[8:9], v[206:207], v[0:1], v[2:3] op_sel:[0,0,1] op_sel_hi:[1,1,0]
	v_pk_fma_f32 v[10:11], v[206:207], v[0:1], v[2:3] op_sel:[0,0,1] op_sel_hi:[0,1,0] neg_lo:[0,0,1] neg_hi:[0,0,1]
	ds_read2_b64 v[0:3], v117 offset0:24 offset1:220
	v_mov_b32_e32 v9, v11
	v_accvgpr_read_b32 v188, a69
	v_mov_b32_e32 v187, v189
	v_accvgpr_read_b32 v189, a70
	s_waitcnt lgkmcnt(0)
	v_pk_mul_f32 v[12:13], v[204:205], v[2:3] op_sel:[1,0]
	s_nop 0
	v_pk_fma_f32 v[14:15], v[204:205], v[2:3], v[12:13] op_sel:[0,0,1] op_sel_hi:[1,1,0]
	v_pk_fma_f32 v[2:3], v[204:205], v[2:3], v[12:13] op_sel:[0,0,1] op_sel_hi:[0,1,0] neg_lo:[0,0,1] neg_hi:[0,0,1]
	v_mov_b32_e32 v15, v3
	ds_read2_b64 v[2:5], v244 offset1:196
	v_pk_add_f32 v[6:7], v[14:15], v[6:7] neg_lo:[0,1] neg_hi:[0,1]
	s_waitcnt lgkmcnt(0)
	v_pk_add_f32 v[192:193], v[2:3], v[8:9] neg_lo:[0,1] neg_hi:[0,1]
	v_pk_fma_f32 v[8:9], v[14:15], 2.0, v[6:7] op_sel_hi:[1,0,1] neg_lo:[0,0,1] neg_hi:[0,0,1]
	v_pk_add_f32 v[194:195], v[192:193], v[6:7] op_sel:[0,1] op_sel_hi:[1,0]
	v_pk_add_f32 v[6:7], v[192:193], v[6:7] op_sel:[0,1] op_sel_hi:[1,0] neg_lo:[0,1] neg_hi:[0,1]
	v_pk_fma_f32 v[2:3], v[2:3], 2.0, v[192:193] op_sel_hi:[1,0,1] neg_lo:[0,0,1] neg_hi:[0,0,1]
	v_mov_b32_e32 v195, v7
	v_pk_add_f32 v[196:197], v[2:3], v[8:9] neg_lo:[0,1] neg_hi:[0,1]
	v_pk_fma_f32 v[192:193], v[192:193], 2.0, v[194:195] op_sel_hi:[1,0,1] neg_lo:[0,0,1] neg_hi:[0,0,1]
	v_pk_fma_f32 v[2:3], v[2:3], 2.0, v[196:197] op_sel_hi:[1,0,1] neg_lo:[0,0,1] neg_hi:[0,0,1]
	ds_read2_b64 v[6:9], v188 offset0:24 offset1:220
	ds_read2_b64 v[10:13], v85 offset0:8 offset1:204
	;; [unrolled: 1-line block ×5, first 2 shown]
	s_waitcnt lgkmcnt(0)
	s_barrier
	ds_write2_b64 v27, v[2:3], v[192:193] offset1:7
	ds_write2_b64 v27, v[196:197], v[194:195] offset0:14 offset1:21
	v_accvgpr_read_b32 v193, a89
	v_accvgpr_read_b32 v192, a88
	v_mov_b32_e32 v2, v7
	v_pk_mul_f32 v[176:177], v[192:193], v[6:7] op_sel_hi:[1,0]
	v_accvgpr_read_b32 v27, a92
	v_pk_fma_f32 v[2:3], v[192:193], v[2:3], v[176:177] op_sel:[0,0,1] op_sel_hi:[1,1,0] neg_lo:[0,0,1] neg_hi:[0,0,1]
	v_pk_fma_f32 v[6:7], v[192:193], v[6:7], v[176:177] op_sel:[0,1,1] op_sel_hi:[1,1,0]
	v_mov_b32_e32 v193, v97
	v_mov_b32_e32 v3, v7
	v_pk_add_f32 v[6:7], v[4:5], v[186:187] neg_lo:[0,1] neg_hi:[0,1]
	v_pk_add_f32 v[2:3], v[178:179], v[2:3] neg_lo:[0,1] neg_hi:[0,1]
	v_pk_fma_f32 v[4:5], v[4:5], 2.0, v[6:7] op_sel_hi:[1,0,1] neg_lo:[0,0,1] neg_hi:[0,0,1]
	v_pk_add_f32 v[176:177], v[6:7], v[2:3]
	v_pk_add_f32 v[186:187], v[6:7], v[2:3] neg_lo:[0,1] neg_hi:[0,1]
	v_pk_fma_f32 v[2:3], v[178:179], 2.0, v[2:3] op_sel_hi:[1,0,1] neg_lo:[0,0,1] neg_hi:[0,0,1]
	v_mov_b32_e32 v177, v187
	v_pk_add_f32 v[2:3], v[4:5], v[2:3] op_sel:[0,1] op_sel_hi:[1,0] neg_lo:[0,1] neg_hi:[0,1]
	v_pk_fma_f32 v[6:7], v[6:7], 2.0, v[176:177] op_sel_hi:[1,0,1] neg_lo:[0,0,1] neg_hi:[0,0,1]
	v_pk_fma_f32 v[4:5], v[4:5], 2.0, v[2:3] op_sel_hi:[1,0,1] neg_lo:[0,0,1] neg_hi:[0,0,1]
	ds_write2_b64 v27, v[4:5], v[6:7] offset1:7
	ds_write2_b64 v27, v[2:3], v[176:177] offset0:14 offset1:21
	v_accvgpr_read_b32 v177, a87
	v_accvgpr_read_b32 v176, a86
	v_mov_b32_e32 v2, v9
	v_pk_mul_f32 v[4:5], v[176:177], v[8:9] op_sel_hi:[1,0]
	v_mov_b32_e32 v27, v29
	v_pk_fma_f32 v[6:7], v[176:177], v[8:9], v[4:5] op_sel:[0,1,1] op_sel_hi:[1,1,0]
	v_pk_fma_f32 v[2:3], v[176:177], v[2:3], v[4:5] op_sel:[0,0,1] op_sel_hi:[1,1,0] neg_lo:[0,0,1] neg_hi:[0,0,1]
	v_pk_add_f32 v[4:5], v[10:11], v[168:169] neg_lo:[0,1] neg_hi:[0,1]
	v_mov_b32_e32 v3, v7
	v_pk_add_f32 v[2:3], v[172:173], v[2:3] neg_lo:[0,1] neg_hi:[0,1]
	v_accvgpr_read_b32 v194, a85
	v_pk_add_f32 v[6:7], v[4:5], v[2:3]
	v_pk_add_f32 v[8:9], v[4:5], v[2:3] neg_lo:[0,1] neg_hi:[0,1]
	v_pk_fma_f32 v[2:3], v[172:173], 2.0, v[2:3] op_sel_hi:[1,0,1] neg_lo:[0,0,1] neg_hi:[0,0,1]
	v_mov_b32_e32 v7, v9
	v_pk_fma_f32 v[8:9], v[4:5], 2.0, v[6:7] op_sel_hi:[1,0,1] neg_lo:[0,0,1] neg_hi:[0,0,1]
	v_pk_fma_f32 v[4:5], v[10:11], 2.0, v[4:5] op_sel_hi:[1,0,1] neg_lo:[0,0,1] neg_hi:[0,0,1]
	v_accvgpr_read_b32 v10, a91
	v_pk_add_f32 v[2:3], v[4:5], v[2:3] op_sel:[0,1] op_sel_hi:[1,0] neg_lo:[0,1] neg_hi:[0,1]
	v_accvgpr_read_b32 v192, a71
	v_pk_fma_f32 v[4:5], v[4:5], 2.0, v[2:3] op_sel_hi:[1,0,1] neg_lo:[0,0,1] neg_hi:[0,0,1]
	ds_write2_b64 v10, v[4:5], v[8:9] offset1:7
	ds_write2_b64 v10, v[2:3], v[6:7] offset0:14 offset1:21
	v_accvgpr_read_b32 v6, a82
	v_accvgpr_read_b32 v7, a83
	v_mov_b32_e32 v2, v15
	v_pk_mul_f32 v[4:5], v[6:7], v[14:15] op_sel_hi:[1,0]
	v_accvgpr_read_b32 v10, a93
	v_pk_fma_f32 v[2:3], v[6:7], v[2:3], v[4:5] op_sel:[0,0,1] op_sel_hi:[1,1,0] neg_lo:[0,0,1] neg_hi:[0,0,1]
	v_pk_fma_f32 v[4:5], v[6:7], v[14:15], v[4:5] op_sel:[0,1,1] op_sel_hi:[1,1,0]
	v_mov_b32_e32 v195, v105
	v_mov_b32_e32 v3, v5
	v_pk_add_f32 v[4:5], v[12:13], v[162:163] neg_lo:[0,1] neg_hi:[0,1]
	v_pk_add_f32 v[2:3], v[160:161], v[2:3] neg_lo:[0,1] neg_hi:[0,1]
	s_nop 0
	v_pk_add_f32 v[6:7], v[4:5], v[2:3]
	v_pk_add_f32 v[8:9], v[4:5], v[2:3] neg_lo:[0,1] neg_hi:[0,1]
	v_pk_fma_f32 v[2:3], v[160:161], 2.0, v[2:3] op_sel_hi:[1,0,1] neg_lo:[0,0,1] neg_hi:[0,0,1]
	v_mov_b32_e32 v7, v9
	v_pk_fma_f32 v[8:9], v[12:13], 2.0, v[4:5] op_sel_hi:[1,0,1] neg_lo:[0,0,1] neg_hi:[0,0,1]
	v_pk_fma_f32 v[4:5], v[4:5], 2.0, v[6:7] op_sel_hi:[1,0,1] neg_lo:[0,0,1] neg_hi:[0,0,1]
	v_pk_add_f32 v[2:3], v[8:9], v[2:3] op_sel:[0,1] op_sel_hi:[1,0] neg_lo:[0,1] neg_hi:[0,1]
	s_nop 0
	v_pk_fma_f32 v[8:9], v[8:9], 2.0, v[2:3] op_sel_hi:[1,0,1] neg_lo:[0,0,1] neg_hi:[0,0,1]
	ds_write2_b64 v10, v[8:9], v[4:5] offset1:7
	ds_write2_b64 v10, v[2:3], v[6:7] offset0:14 offset1:21
	v_accvgpr_read_b32 v8, a80
	v_accvgpr_read_b32 v9, a81
	v_mov_b32_e32 v2, v17
	v_pk_mul_f32 v[4:5], v[8:9], v[16:17] op_sel_hi:[1,0]
	v_accvgpr_read_b32 v10, a95
	v_pk_fma_f32 v[6:7], v[8:9], v[16:17], v[4:5] op_sel:[0,1,1] op_sel_hi:[1,1,0]
	v_pk_fma_f32 v[2:3], v[8:9], v[2:3], v[4:5] op_sel:[0,0,1] op_sel_hi:[1,1,0] neg_lo:[0,0,1] neg_hi:[0,0,1]
	v_pk_add_f32 v[4:5], v[18:19], v[150:151] neg_lo:[0,1] neg_hi:[0,1]
	v_mov_b32_e32 v3, v7
	v_pk_add_f32 v[2:3], v[154:155], v[2:3] neg_lo:[0,1] neg_hi:[0,1]
	v_mov_b32_e32 v16, v57
	v_pk_add_f32 v[6:7], v[4:5], v[2:3]
	v_pk_add_f32 v[8:9], v[4:5], v[2:3] neg_lo:[0,1] neg_hi:[0,1]
	v_pk_fma_f32 v[2:3], v[154:155], 2.0, v[2:3] op_sel_hi:[1,0,1] neg_lo:[0,0,1] neg_hi:[0,0,1]
	v_mov_b32_e32 v7, v9
	v_pk_fma_f32 v[8:9], v[4:5], 2.0, v[6:7] op_sel_hi:[1,0,1] neg_lo:[0,0,1] neg_hi:[0,0,1]
	v_pk_fma_f32 v[4:5], v[18:19], 2.0, v[4:5] op_sel_hi:[1,0,1] neg_lo:[0,0,1] neg_hi:[0,0,1]
	v_mov_b32_e32 v17, v55
	v_pk_add_f32 v[2:3], v[4:5], v[2:3] op_sel:[0,1] op_sel_hi:[1,0] neg_lo:[0,1] neg_hi:[0,1]
	s_nop 0
	v_pk_fma_f32 v[4:5], v[4:5], 2.0, v[2:3] op_sel_hi:[1,0,1] neg_lo:[0,0,1] neg_hi:[0,0,1]
	ds_write2_b64 v10, v[4:5], v[8:9] offset1:7
	ds_write2_b64 v10, v[2:3], v[6:7] offset0:14 offset1:21
	v_accvgpr_read_b32 v6, a76
	v_accvgpr_read_b32 v7, a77
	v_mov_b32_e32 v2, v23
	v_pk_mul_f32 v[4:5], v[6:7], v[22:23] op_sel_hi:[1,0]
	v_accvgpr_read_b32 v10, a98
	v_pk_fma_f32 v[2:3], v[6:7], v[2:3], v[4:5] op_sel:[0,0,1] op_sel_hi:[1,1,0] neg_lo:[0,0,1] neg_hi:[0,0,1]
	v_pk_fma_f32 v[4:5], v[6:7], v[22:23], v[4:5] op_sel:[0,1,1] op_sel_hi:[1,1,0]
	s_nop 0
	v_mov_b32_e32 v3, v5
	v_pk_add_f32 v[4:5], v[20:21], v[146:147] neg_lo:[0,1] neg_hi:[0,1]
	v_pk_add_f32 v[2:3], v[38:39], v[2:3] neg_lo:[0,1] neg_hi:[0,1]
	s_nop 0
	v_pk_add_f32 v[6:7], v[4:5], v[2:3]
	v_pk_add_f32 v[8:9], v[4:5], v[2:3] neg_lo:[0,1] neg_hi:[0,1]
	v_pk_fma_f32 v[2:3], v[38:39], 2.0, v[2:3] op_sel_hi:[1,0,1] neg_lo:[0,0,1] neg_hi:[0,0,1]
	v_mov_b32_e32 v7, v9
	v_pk_fma_f32 v[8:9], v[20:21], 2.0, v[4:5] op_sel_hi:[1,0,1] neg_lo:[0,0,1] neg_hi:[0,0,1]
	v_pk_fma_f32 v[4:5], v[4:5], 2.0, v[6:7] op_sel_hi:[1,0,1] neg_lo:[0,0,1] neg_hi:[0,0,1]
	v_pk_add_f32 v[2:3], v[8:9], v[2:3] op_sel:[0,1] op_sel_hi:[1,0] neg_lo:[0,1] neg_hi:[0,1]
	s_nop 0
	v_pk_fma_f32 v[8:9], v[8:9], 2.0, v[2:3] op_sel_hi:[1,0,1] neg_lo:[0,0,1] neg_hi:[0,0,1]
	ds_write2_b64 v10, v[8:9], v[4:5] offset1:7
	ds_write2_b64 v10, v[2:3], v[6:7] offset0:14 offset1:21
	v_accvgpr_read_b32 v8, a74
	v_accvgpr_read_b32 v9, a75
	v_mov_b32_e32 v2, v25
	v_pk_mul_f32 v[4:5], v[8:9], v[24:25] op_sel_hi:[1,0]
	s_nop 0
	v_pk_fma_f32 v[6:7], v[8:9], v[24:25], v[4:5] op_sel:[0,1,1] op_sel_hi:[1,1,0]
	v_pk_fma_f32 v[2:3], v[8:9], v[2:3], v[4:5] op_sel:[0,0,1] op_sel_hi:[1,1,0] neg_lo:[0,0,1] neg_hi:[0,0,1]
	v_pk_add_f32 v[4:5], v[0:1], v[26:27] neg_lo:[0,1] neg_hi:[0,1]
	v_mov_b32_e32 v3, v7
	v_pk_add_f32 v[2:3], v[30:31], v[2:3] neg_lo:[0,1] neg_hi:[0,1]
	v_pk_fma_f32 v[0:1], v[0:1], 2.0, v[4:5] op_sel_hi:[1,0,1] neg_lo:[0,0,1] neg_hi:[0,0,1]
	v_pk_add_f32 v[6:7], v[4:5], v[2:3]
	v_pk_add_f32 v[8:9], v[4:5], v[2:3] neg_lo:[0,1] neg_hi:[0,1]
	v_pk_fma_f32 v[2:3], v[30:31], 2.0, v[2:3] op_sel_hi:[1,0,1] neg_lo:[0,0,1] neg_hi:[0,0,1]
	v_mov_b32_e32 v7, v9
	v_pk_add_f32 v[2:3], v[0:1], v[2:3] op_sel:[0,1] op_sel_hi:[1,0] neg_lo:[0,1] neg_hi:[0,1]
	v_pk_fma_f32 v[4:5], v[4:5], 2.0, v[6:7] op_sel_hi:[1,0,1] neg_lo:[0,0,1] neg_hi:[0,0,1]
	v_pk_fma_f32 v[0:1], v[0:1], 2.0, v[2:3] op_sel_hi:[1,0,1] neg_lo:[0,0,1] neg_hi:[0,0,1]
	v_accvgpr_read_b32 v8, a94
	ds_write2_b64 v8, v[0:1], v[4:5] offset1:7
	ds_write2_b64 v8, v[2:3], v[6:7] offset0:14 offset1:21
	s_waitcnt lgkmcnt(0)
	s_barrier
	ds_read2_b64 v[0:3], v73 offset0:16 offset1:212
	ds_read2_b64 v[12:15], v200 offset0:32 offset1:228
	v_accvgpr_read_b32 v24, a148
	ds_read2_b64 v[156:159], v28 offset0:8 offset1:204
	ds_read2_b64 v[160:163], v188 offset0:24 offset1:220
	s_waitcnt lgkmcnt(3)
	v_mov_b32_e32 v4, v1
	v_pk_mul_f32 v[6:7], v[66:67], v[0:1] op_sel_hi:[1,0]
	v_accvgpr_read_b32 v25, a149
	v_pk_fma_f32 v[154:155], v[66:67], v[4:5], v[6:7] op_sel:[0,0,1] op_sel_hi:[1,1,0] neg_lo:[0,0,1] neg_hi:[0,0,1]
	v_pk_fma_f32 v[0:1], v[66:67], v[0:1], v[6:7] op_sel:[0,1,1] op_sel_hi:[1,1,0]
	ds_read2_b64 v[4:7], v105 offset0:32 offset1:228
	ds_read2_b64 v[168:171], v198 offset0:40 offset1:236
	v_accvgpr_read_b32 v26, a150
	v_accvgpr_read_b32 v27, a151
	;; [unrolled: 1-line block ×3, first 2 shown]
	s_waitcnt lgkmcnt(1)
	v_mov_b32_e32 v0, v5
	v_pk_mul_f32 v[8:9], v[68:69], v[4:5] op_sel_hi:[1,0]
	v_mul_f32_e32 v23, v55, v7
	v_pk_fma_f32 v[152:153], v[68:69], v[0:1], v[8:9] op_sel:[0,0,1] op_sel_hi:[1,1,0] neg_lo:[0,0,1] neg_hi:[0,0,1]
	v_pk_fma_f32 v[34:35], v[68:69], v[4:5], v[8:9] op_sel:[0,1,1] op_sel_hi:[1,1,0]
	ds_read2_b64 v[8:11], v61 offset0:16 offset1:212
	v_fmac_f32_e32 v23, v54, v6
	v_accvgpr_read_b32 v29, a163
	v_accvgpr_read_b32 v30, a160
	v_mul_f32_e32 v33, v79, v161
	s_waitcnt lgkmcnt(0)
	v_mov_b32_e32 v0, v9
	v_pk_mul_f32 v[4:5], v[74:75], v[8:9] op_sel_hi:[1,0]
	v_mul_f32_e32 v69, v49, v11
	v_pk_fma_f32 v[164:165], v[74:75], v[0:1], v[4:5] op_sel:[0,0,1] op_sel_hi:[1,1,0] neg_lo:[0,0,1] neg_hi:[0,0,1]
	v_pk_fma_f32 v[146:147], v[74:75], v[8:9], v[4:5] op_sel:[0,1,1] op_sel_hi:[1,1,0]
	v_mov_b32_e32 v0, v13
	v_pk_mul_f32 v[4:5], v[76:77], v[12:13] op_sel_hi:[1,0]
	v_mov_b32_e32 v9, v7
	v_pk_fma_f32 v[172:173], v[76:77], v[0:1], v[4:5] op_sel:[0,0,1] op_sel_hi:[1,1,0] neg_lo:[0,0,1] neg_hi:[0,0,1]
	v_pk_fma_f32 v[174:175], v[76:77], v[12:13], v[4:5] op_sel:[0,1,1] op_sel_hi:[1,1,0]
	v_mov_b32_e32 v13, v6
	ds_read2_b64 v[4:7], v201 offset0:48 offset1:244
	v_mul_f32_e32 v0, v53, v2
	v_fmac_f32_e32 v69, v48, v10
	v_accvgpr_read_b32 v31, a161
	v_fmac_f32_e32 v33, v78, v160
	s_waitcnt lgkmcnt(0)
	v_mov_b32_e32 v12, v7
	v_pk_mul_f32 v[12:13], v[16:17], v[12:13]
	v_mov_b32_e32 v16, v56
	v_mov_b32_e32 v17, v54
	;; [unrolled: 1-line block ×3, first 2 shown]
	v_pk_fma_f32 v[38:39], v[56:57], v[6:7], v[12:13] op_sel_hi:[0,1,1]
	v_pk_fma_f32 v[54:55], v[16:17], v[8:9], v[12:13] neg_lo:[0,0,1] neg_hi:[0,0,1]
	v_accvgpr_read_b32 v12, a136
	v_fma_f32 v56, v52, v3, -v0
	v_mov_b32_e32 v8, v3
	v_mov_b32_e32 v9, v6
	v_accvgpr_read_b32 v13, a137
	v_mov_b32_e32 v3, v7
	v_accvgpr_read_b32 v6, a134
	v_pk_mul_f32 v[8:9], v[12:13], v[8:9]
	v_accvgpr_read_b32 v7, a135
	v_pk_fma_f32 v[66:67], v[6:7], v[2:3], v[8:9]
	v_pk_fma_f32 v[52:53], v[6:7], v[2:3], v[8:9] neg_lo:[0,0,1] neg_hi:[0,0,1]
	ds_read2_b64 v[6:9], v97 offset1:196
	v_accvgpr_read_b32 v12, a140
	v_mov_b32_e32 v3, v11
	v_mov_b32_e32 v11, v10
	v_accvgpr_read_b32 v13, a141
	s_waitcnt lgkmcnt(0)
	v_mov_b32_e32 v10, v8
	v_pk_mul_f32 v[10:11], v[12:13], v[10:11]
	v_accvgpr_read_b32 v12, a138
	v_mov_b32_e32 v2, v9
	v_accvgpr_read_b32 v13, a139
	v_mul_f32_e32 v0, v51, v14
	v_pk_fma_f32 v[74:75], v[12:13], v[2:3], v[10:11]
	v_pk_fma_f32 v[76:77], v[12:13], v[2:3], v[10:11] neg_lo:[0,0,1] neg_hi:[0,0,1]
	v_fma_f32 v146, v50, v15, -v0
	v_mul_f32_e32 v0, v63, v4
	v_mul_f32_e32 v2, v65, v6
	v_fma_f32 v0, v62, v5, -v0
	v_mul_f32_e32 v176, v63, v5
	v_fma_f32 v2, v64, v7, -v2
	v_mul_f32_e32 v186, v65, v7
	v_mov_b32_e32 v5, v9
	v_mov_b32_e32 v7, v8
	v_accvgpr_read_b32 v8, a132
	v_mul_f32_e32 v178, v64, v6
	v_mov_b32_e32 v6, v15
	v_accvgpr_read_b32 v9, a133
	v_pk_mul_f32 v[6:7], v[8:9], v[6:7]
	v_accvgpr_read_b32 v8, a130
	v_mul_f32_e32 v174, v62, v4
	v_mov_b32_e32 v4, v14
	v_accvgpr_read_b32 v9, a131
	v_pk_fma_f32 v[150:151], v[8:9], v[4:5], v[6:7]
	v_pk_fma_f32 v[148:149], v[8:9], v[4:5], v[6:7] neg_lo:[0,0,1] neg_hi:[0,0,1]
	ds_read2_b64 v[8:11], v32 offset0:56 offset1:252
	ds_read2_b64 v[4:7], v199 offset0:40 offset1:236
	v_mov_b32_e32 v12, v45
	v_mov_b32_e32 v13, v43
	v_accvgpr_read_b32 v78, a154
	s_waitcnt lgkmcnt(1)
	v_mov_b32_e32 v14, v9
	s_waitcnt lgkmcnt(0)
	v_mov_b32_e32 v15, v4
	v_pk_mul_f32 v[12:13], v[12:13], v[14:15]
	v_mov_b32_e32 v14, v44
	v_mov_b32_e32 v15, v42
	;; [unrolled: 1-line block ×4, first 2 shown]
	v_pk_fma_f32 v[16:17], v[44:45], v[8:9], v[12:13] op_sel_hi:[0,1,1]
	v_pk_fma_f32 v[12:13], v[14:15], v[18:19], v[12:13] neg_lo:[0,0,1] neg_hi:[0,0,1]
	ds_read2_b64 v[18:21], v117 offset0:24 offset1:220
	v_mov_b32_e32 v15, v8
	v_mul_f32_e32 v43, v43, v5
	v_mul_f32_e32 v5, v183, v7
	v_fmac_f32_e32 v5, v182, v6
	s_waitcnt lgkmcnt(0)
	v_mov_b32_e32 v14, v19
	v_pk_mul_f32 v[14:15], v[24:25], v[14:15]
	v_accvgpr_read_b32 v24, a146
	v_mov_b32_e32 v8, v18
	v_accvgpr_read_b32 v25, a147
	v_pk_fma_f32 v[44:45], v[24:25], v[8:9], v[14:15]
	v_pk_fma_f32 v[24:25], v[24:25], v[8:9], v[14:15] neg_lo:[0,0,1] neg_hi:[0,0,1]
	v_accvgpr_read_b32 v14, a152
	v_mov_b32_e32 v8, v156
	v_mov_b32_e32 v9, v160
	v_accvgpr_read_b32 v15, a153
	v_pk_mul_f32 v[8:9], v[14:15], v[8:9]
	v_mov_b32_e32 v14, v157
	v_mov_b32_e32 v15, v161
	v_pk_fma_f32 v[48:49], v[26:27], v[14:15], v[8:9]
	v_pk_fma_f32 v[50:51], v[26:27], v[14:15], v[8:9] neg_lo:[0,0,1] neg_hi:[0,0,1]
	v_accvgpr_read_b32 v14, a144
	v_mov_b32_e32 v8, v169
	v_mov_b32_e32 v9, v156
	v_accvgpr_read_b32 v15, a145
	v_accvgpr_read_b32 v26, a142
	v_pk_mul_f32 v[8:9], v[14:15], v[8:9]
	v_mov_b32_e32 v14, v168
	v_mov_b32_e32 v15, v157
	v_accvgpr_read_b32 v27, a143
	v_pk_fma_f32 v[64:65], v[26:27], v[14:15], v[8:9]
	v_pk_fma_f32 v[62:63], v[26:27], v[14:15], v[8:9] neg_lo:[0,0,1] neg_hi:[0,0,1]
	v_mov_b32_e32 v9, v7
	v_mov_b32_e32 v7, v6
	;; [unrolled: 1-line block ×5, first 2 shown]
	v_mul_f32_e32 v3, v41, v18
	v_pk_mul_f32 v[14:15], v[14:15], v[6:7]
	v_mov_b32_e32 v26, v36
	v_mov_b32_e32 v27, v182
	;; [unrolled: 1-line block ×3, first 2 shown]
	v_fma_f32 v34, v40, v19, -v3
	v_mul_f32_e32 v3, v181, v20
	v_pk_fma_f32 v[6:7], v[36:37], v[10:11], v[14:15] op_sel_hi:[0,1,1]
	v_pk_fma_f32 v[8:9], v[26:27], v[8:9], v[14:15] neg_lo:[0,0,1] neg_hi:[0,0,1]
	v_fma_f32 v12, v180, v21, -v3
	v_mov_b32_e32 v18, v20
	v_mov_b32_e32 v14, v21
	;; [unrolled: 1-line block ×5, first 2 shown]
	v_pk_mul_f32 v[28:29], v[28:29], v[20:21]
	v_mov_b32_e32 v26, v159
	v_accvgpr_read_b32 v40, a156
	v_pk_fma_f32 v[20:21], v[30:31], v[26:27], v[28:29]
	v_pk_fma_f32 v[26:27], v[30:31], v[26:27], v[28:29] neg_lo:[0,0,1] neg_hi:[0,0,1]
	v_mul_f32_e32 v3, v81, v168
	v_mov_b32_e32 v30, v171
	v_mov_b32_e32 v31, v158
	v_accvgpr_read_b32 v41, a157
	v_mov_b32_e32 v173, v175
	v_mov_b32_e32 v179, v154
	;; [unrolled: 1-line block ×5, first 2 shown]
	v_fma_f32 v36, v80, v169, -v3
	v_mul_f32_e32 v3, v251, v170
	v_mov_b32_e32 v28, v170
	v_pk_mul_f32 v[40:41], v[40:41], v[30:31]
	v_mov_b32_e32 v29, v159
	v_accvgpr_read_b32 v79, a155
	v_mov_b32_e32 v155, v1
	v_mov_b32_e32 v153, v35
	;; [unrolled: 1-line block ×3, first 2 shown]
	v_pk_add_f32 v[156:157], v[178:179], v[186:187]
	v_pk_add_f32 v[160:161], v[174:175], v[176:177]
	v_mov_b32_e32 v19, v11
	v_mov_b32_e32 v15, v10
	v_accvgpr_read_b32 v10, a158
	v_fma_f32 v24, v250, v171, -v3
	v_pk_fma_f32 v[30:31], v[78:79], v[28:29], v[40:41]
	v_pk_fma_f32 v[28:29], v[78:79], v[28:29], v[40:41] neg_lo:[0,0,1] neg_hi:[0,0,1]
	v_pk_add_f32 v[40:41], v[154:155], v[172:173]
	v_pk_add_f32 v[158:159], v[152:153], v[164:165]
	v_mov_b32_e32 v3, v156
	v_mov_b32_e32 v1, v160
	v_accvgpr_read_b32 v11, a159
	v_pk_add_f32 v[152:153], v[152:153], v[164:165] neg_lo:[0,1] neg_hi:[0,1]
	v_pk_add_f32 v[78:79], v[2:3], v[0:1] neg_lo:[0,1] neg_hi:[0,1]
	v_mov_b32_e32 v1, v0
	v_mov_b32_e32 v0, v159
	;; [unrolled: 1-line block ×4, first 2 shown]
	v_pk_mul_f32 v[10:11], v[10:11], v[14:15]
	v_pk_add_f32 v[154:155], v[154:155], v[172:173] neg_lo:[0,1] neg_hi:[0,1]
	v_pk_add_f32 v[0:1], v[0:1], v[2:3]
	v_pk_add_f32 v[2:3], v[78:79], v[152:153]
	v_pk_fma_f32 v[14:15], v[190:191], v[18:19], v[10:11]
	v_pk_fma_f32 v[10:11], v[190:191], v[18:19], v[10:11] neg_lo:[0,0,1] neg_hi:[0,0,1]
	v_mul_f32_e32 v19, v249, v163
	v_pk_add_f32 v[168:169], v[2:3], v[154:155]
	v_pk_add_f32 v[2:3], v[160:161], v[156:157]
	v_fmac_f32_e32 v19, v248, v162
	v_mov_b32_e32 v80, v78
	v_mov_b32_e32 v81, v155
	;; [unrolled: 1-line block ×8, first 2 shown]
	v_pk_add_f32 v[80:81], v[80:81], v[162:163] neg_lo:[0,1] neg_hi:[0,1]
	v_mov_b32_e32 v162, v154
	v_mov_b32_e32 v165, v153
	v_pk_add_f32 v[78:79], v[156:157], v[78:79] neg_lo:[0,1] neg_hi:[0,1]
	v_pk_add_f32 v[162:163], v[162:163], v[164:165] neg_lo:[0,1] neg_hi:[0,1]
	v_pk_mul_f32 v[164:165], v[80:81], s[18:19]
	v_pk_mul_f32 v[172:173], v[78:79], s[8:9]
	ds_read2_b64 v[78:81], v244 offset1:196
	v_mov_b32_e32 v160, v2
	v_pk_add_f32 v[2:3], v[0:1], v[2:3]
	v_mov_b32_e32 v0, v41
	v_pk_add_f32 v[170:171], v[0:1], v[160:161] neg_lo:[0,1] neg_hi:[0,1]
	s_waitcnt lgkmcnt(0)
	v_pk_add_f32 v[78:79], v[78:79], v[2:3]
	v_pk_fma_f32 v[0:1], v[170:171], s[6:7], v[172:173]
	v_pk_fma_f32 v[174:175], v[2:3], s[12:13], v[78:79] op_sel_hi:[1,0,1] neg_lo:[1,0,0] neg_hi:[1,0,0]
	v_pk_fma_f32 v[2:3], v[162:163], s[16:17], v[164:165]
	v_pk_add_f32 v[0:1], v[0:1], v[174:175]
	v_pk_fma_f32 v[2:3], v[168:169], s[10:11], v[2:3] op_sel_hi:[1,0,1]
	v_fmac_f32_e32 v43, v42, v4
	v_pk_add_f32 v[176:177], v[0:1], v[2:3]
	v_pk_add_f32 v[178:179], v[0:1], v[2:3] neg_lo:[0,1] neg_hi:[0,1]
	v_mov_b32_e32 v180, v176
	v_mov_b32_e32 v181, v179
	v_accvgpr_read_b32 v4, a99
	ds_read2_b64 v[0:3], v85 offset0:8 offset1:204
	s_waitcnt lgkmcnt(0)
	s_barrier
	ds_write2_b64 v4, v[78:79], v[180:181] offset1:28
	v_pk_add_f32 v[78:79], v[152:153], v[154:155] neg_lo:[0,1] neg_hi:[0,1]
	v_mov_b32_e32 v160, v159
	v_mov_b32_e32 v156, v41
	v_pk_mul_f32 v[152:153], v[162:163], s[16:17]
	v_pk_mul_f32 v[154:155], v[170:171], s[6:7]
	v_pk_add_f32 v[40:41], v[160:161], v[156:157] neg_lo:[0,1] neg_hi:[0,1]
	v_mov_b32_e32 v156, v154
	v_mov_b32_e32 v157, v173
	;; [unrolled: 1-line block ×6, first 2 shown]
	v_pk_fma_f32 v[156:157], v[40:41], s[2:3], v[156:157] op_sel_hi:[1,0,1] neg_lo:[1,0,1] neg_hi:[1,0,1]
	v_pk_fma_f32 v[158:159], v[78:79], s[14:15], v[158:159] op_sel_hi:[1,0,1] neg_lo:[1,0,1] neg_hi:[1,0,1]
	;; [unrolled: 1-line block ×4, first 2 shown]
	v_pk_add_f32 v[156:157], v[156:157], v[174:175]
	v_pk_fma_f32 v[158:159], v[168:169], s[10:11], v[158:159] op_sel_hi:[1,0,1]
	v_pk_add_f32 v[40:41], v[40:41], v[174:175]
	v_pk_fma_f32 v[78:79], v[168:169], s[10:11], v[78:79] op_sel_hi:[1,0,1]
	v_pk_add_f32 v[160:161], v[156:157], v[158:159]
	v_pk_add_f32 v[156:157], v[156:157], v[158:159] neg_lo:[0,1] neg_hi:[0,1]
	v_pk_add_f32 v[152:153], v[40:41], v[78:79] neg_lo:[0,1] neg_hi:[0,1]
	v_pk_add_f32 v[40:41], v[40:41], v[78:79]
	v_mov_b32_e32 v79, v157
	v_mov_b32_e32 v155, v41
	;; [unrolled: 1-line block ×10, first 2 shown]
	ds_write2_b64 v4, v[40:41], v[156:157] offset0:112 offset1:140
	v_mov_b32_e32 v57, v66
	v_mov_b32_e32 v147, v150
	v_add_f32_e32 v41, v56, v146
	v_add_f32_e32 v52, v23, v69
	v_pk_add_f32 v[22:23], v[22:23], v[68:69] neg_lo:[0,1] neg_hi:[0,1]
	v_pk_add_f32 v[54:55], v[66:67], v[150:151]
	v_mov_b32_e32 v66, v149
	v_mov_b32_e32 v67, v74
	v_pk_add_f32 v[68:69], v[38:39], v[74:75]
	v_mov_b32_e32 v74, v53
	v_mov_b32_e32 v75, v38
	v_pk_add_f32 v[56:57], v[56:57], v[146:147] neg_lo:[0,1] neg_hi:[0,1]
	v_pk_add_f32 v[38:39], v[66:67], v[74:75] neg_lo:[0,1] neg_hi:[0,1]
	v_mov_b32_e32 v66, v68
	v_mov_b32_e32 v67, v41
	;; [unrolled: 1-line block ×6, first 2 shown]
	v_pk_add_f32 v[66:67], v[66:67], v[74:75] neg_lo:[0,1] neg_hi:[0,1]
	v_mov_b32_e32 v74, v38
	v_mov_b32_e32 v75, v57
	v_mov_b32_e32 v76, v22
	v_mov_b32_e32 v77, v39
	ds_write2_b64 v4, v[78:79], v[154:155] offset0:56 offset1:84
	v_pk_add_f32 v[74:75], v[74:75], v[76:77] neg_lo:[0,1] neg_hi:[0,1]
	v_mov_b32_e32 v76, v56
	v_pk_add_f32 v[78:79], v[38:39], v[22:23]
	v_mov_b32_e32 v39, v23
	v_mov_b32_e32 v53, v69
	;; [unrolled: 1-line block ×3, first 2 shown]
	v_pk_add_f32 v[38:39], v[76:77], v[38:39] neg_lo:[0,1] neg_hi:[0,1]
	v_pk_add_f32 v[76:77], v[54:55], v[68:69] neg_lo:[0,1] neg_hi:[0,1]
	v_mov_b32_e32 v69, v55
	v_pk_add_f32 v[54:55], v[52:53], v[40:41]
	v_pk_mul_f32 v[66:67], v[66:67], s[8:9]
	v_pk_add_f32 v[54:55], v[68:69], v[54:55]
	v_pk_mul_f32 v[74:75], v[74:75], s[18:19]
	v_pk_add_f32 v[68:69], v[80:81], v[54:55]
	v_pk_add_f32 v[78:79], v[78:79], v[56:57]
	v_pk_fma_f32 v[54:55], v[54:55], s[12:13], v[68:69] op_sel_hi:[1,0,1] neg_lo:[1,0,0] neg_hi:[1,0,0]
	v_pk_fma_f32 v[80:81], v[76:77], s[6:7], v[66:67]
	v_pk_fma_f32 v[146:147], v[38:39], s[16:17], v[74:75]
	v_pk_add_f32 v[80:81], v[80:81], v[54:55]
	v_pk_fma_f32 v[146:147], v[78:79], s[10:11], v[146:147] op_sel_hi:[1,0,1]
	v_mov_b32_e32 v179, v177
	v_pk_add_f32 v[148:149], v[80:81], v[146:147] neg_lo:[0,1] neg_hi:[0,1]
	v_pk_add_f32 v[80:81], v[80:81], v[146:147]
	ds_write_b64 v4, v[178:179] offset:1344
	v_mov_b32_e32 v146, v80
	v_mov_b32_e32 v147, v149
	v_accvgpr_read_b32 v4, a107
	v_pk_add_f32 v[40:41], v[52:53], v[40:41] neg_lo:[0,1] neg_hi:[0,1]
	v_pk_mul_f32 v[52:53], v[76:77], s[6:7]
	v_pk_mul_f32 v[38:39], v[38:39], s[16:17]
	ds_write2_b64 v4, v[68:69], v[146:147] offset1:28
	v_pk_add_f32 v[22:23], v[22:23], v[56:57] neg_lo:[0,1] neg_hi:[0,1]
	v_mov_b32_e32 v56, v52
	v_mov_b32_e32 v57, v67
	;; [unrolled: 1-line block ×6, first 2 shown]
	v_pk_fma_f32 v[56:57], v[40:41], s[2:3], v[56:57] op_sel_hi:[1,0,1] neg_lo:[1,0,1] neg_hi:[1,0,1]
	v_pk_fma_f32 v[68:69], v[22:23], s[14:15], v[68:69] op_sel_hi:[1,0,1] neg_lo:[1,0,1] neg_hi:[1,0,1]
	;; [unrolled: 1-line block ×4, first 2 shown]
	v_pk_add_f32 v[56:57], v[56:57], v[54:55]
	v_pk_fma_f32 v[68:69], v[78:79], s[10:11], v[68:69] op_sel_hi:[1,0,1]
	v_pk_add_f32 v[38:39], v[40:41], v[54:55]
	v_pk_fma_f32 v[22:23], v[78:79], s[10:11], v[22:23] op_sel_hi:[1,0,1]
	v_pk_add_f32 v[76:77], v[56:57], v[68:69] neg_lo:[0,1] neg_hi:[0,1]
	v_pk_add_f32 v[56:57], v[56:57], v[68:69]
	v_pk_add_f32 v[40:41], v[38:39], v[22:23]
	v_pk_add_f32 v[22:23], v[38:39], v[22:23] neg_lo:[0,1] neg_hi:[0,1]
	v_mov_b32_e32 v38, v56
	v_mov_b32_e32 v39, v77
	;; [unrolled: 1-line block ×14, first 2 shown]
	ds_write2_b64 v4, v[38:39], v[52:53] offset0:56 offset1:84
	ds_write2_b64 v4, v[40:41], v[76:77] offset0:112 offset1:140
	v_add_f32_e32 v23, v34, v36
	v_pk_add_f32 v[34:35], v[34:35], v[36:37] neg_lo:[0,1] neg_hi:[0,1]
	v_add_f32_e32 v36, v43, v33
	v_pk_add_f32 v[32:33], v[42:43], v[32:33] neg_lo:[0,1] neg_hi:[0,1]
	v_pk_add_f32 v[38:39], v[44:45], v[64:65]
	v_mov_b32_e32 v40, v63
	v_mov_b32_e32 v41, v48
	v_pk_add_f32 v[42:43], v[16:17], v[48:49]
	v_mov_b32_e32 v44, v25
	v_mov_b32_e32 v45, v16
	v_pk_add_f32 v[16:17], v[40:41], v[44:45] neg_lo:[0,1] neg_hi:[0,1]
	v_mov_b32_e32 v40, v42
	v_mov_b32_e32 v41, v23
	;; [unrolled: 1-line block ×4, first 2 shown]
	v_pk_add_f32 v[40:41], v[40:41], v[44:45] neg_lo:[0,1] neg_hi:[0,1]
	v_mov_b32_e32 v44, v16
	v_mov_b32_e32 v45, v35
	;; [unrolled: 1-line block ×4, first 2 shown]
	v_pk_add_f32 v[44:45], v[44:45], v[48:49] neg_lo:[0,1] neg_hi:[0,1]
	v_mov_b32_e32 v48, v34
	v_pk_add_f32 v[50:51], v[16:17], v[32:33]
	v_mov_b32_e32 v17, v33
	v_mov_b32_e32 v37, v43
	;; [unrolled: 1-line block ×3, first 2 shown]
	v_pk_add_f32 v[16:17], v[48:49], v[16:17] neg_lo:[0,1] neg_hi:[0,1]
	v_pk_add_f32 v[48:49], v[38:39], v[42:43] neg_lo:[0,1] neg_hi:[0,1]
	v_mov_b32_e32 v43, v39
	v_pk_add_f32 v[38:39], v[36:37], v[22:23]
	v_pk_mul_f32 v[40:41], v[40:41], s[8:9]
	v_pk_add_f32 v[38:39], v[42:43], v[38:39]
	v_pk_mul_f32 v[44:45], v[44:45], s[18:19]
	v_pk_add_f32 v[0:1], v[0:1], v[38:39]
	v_pk_add_f32 v[42:43], v[50:51], v[34:35]
	v_pk_fma_f32 v[38:39], v[38:39], s[12:13], v[0:1] op_sel_hi:[1,0,1] neg_lo:[1,0,0] neg_hi:[1,0,0]
	v_pk_fma_f32 v[50:51], v[48:49], s[6:7], v[40:41]
	v_pk_fma_f32 v[52:53], v[16:17], s[16:17], v[44:45]
	v_pk_add_f32 v[50:51], v[50:51], v[38:39]
	v_pk_fma_f32 v[52:53], v[42:43], s[10:11], v[52:53] op_sel_hi:[1,0,1]
	v_mov_b32_e32 v149, v81
	v_pk_add_f32 v[54:55], v[50:51], v[52:53] neg_lo:[0,1] neg_hi:[0,1]
	v_pk_add_f32 v[50:51], v[50:51], v[52:53]
	v_mov_b32_e32 v53, v55
	v_mov_b32_e32 v52, v50
	ds_write_b64 v4, v[148:149] offset:1344
	ds_write2_b64 v185, v[0:1], v[52:53] offset1:28
	v_pk_add_f32 v[0:1], v[36:37], v[22:23] neg_lo:[0,1] neg_hi:[0,1]
	v_pk_add_f32 v[22:23], v[32:33], v[34:35] neg_lo:[0,1] neg_hi:[0,1]
	v_pk_mul_f32 v[32:33], v[48:49], s[6:7]
	v_pk_mul_f32 v[16:17], v[16:17], s[16:17]
	v_mov_b32_e32 v34, v32
	v_mov_b32_e32 v35, v41
	;; [unrolled: 1-line block ×6, first 2 shown]
	v_pk_fma_f32 v[34:35], v[0:1], s[2:3], v[34:35] op_sel_hi:[1,0,1] neg_lo:[1,0,1] neg_hi:[1,0,1]
	v_pk_fma_f32 v[36:37], v[22:23], s[14:15], v[36:37] op_sel_hi:[1,0,1] neg_lo:[1,0,1] neg_hi:[1,0,1]
	;; [unrolled: 1-line block ×4, first 2 shown]
	v_pk_add_f32 v[34:35], v[34:35], v[38:39]
	v_pk_fma_f32 v[36:37], v[42:43], s[10:11], v[36:37] op_sel_hi:[1,0,1]
	v_pk_add_f32 v[0:1], v[0:1], v[38:39]
	v_pk_fma_f32 v[16:17], v[42:43], s[10:11], v[16:17] op_sel_hi:[1,0,1]
	v_pk_add_f32 v[48:49], v[34:35], v[36:37] neg_lo:[0,1] neg_hi:[0,1]
	v_pk_add_f32 v[34:35], v[34:35], v[36:37]
	v_pk_add_f32 v[22:23], v[0:1], v[16:17]
	v_pk_add_f32 v[0:1], v[0:1], v[16:17] neg_lo:[0,1] neg_hi:[0,1]
	v_mov_b32_e32 v16, v34
	v_mov_b32_e32 v17, v49
	v_mov_b32_e32 v32, v0
	v_mov_b32_e32 v33, v23
	v_mov_b32_e32 v7, v9
	v_mov_b32_e32 v4, v9
	v_mov_b32_e32 v21, v27
	v_mov_b32_e32 v18, v27
	v_mov_b32_e32 v15, v11
	v_mov_b32_e32 v31, v29
	ds_write2_b64 v185, v[16:17], v[32:33] offset0:56 offset1:84
	v_mov_b32_e32 v23, v1
	v_mov_b32_e32 v13, v14
	;; [unrolled: 1-line block ×3, first 2 shown]
	v_add_f32_e32 v1, v12, v24
	v_add_f32_e32 v8, v5, v19
	v_pk_add_f32 v[4:5], v[4:5], v[18:19] neg_lo:[0,1] neg_hi:[0,1]
	v_pk_add_f32 v[14:15], v[14:15], v[30:31]
	v_mov_b32_e32 v16, v29
	v_mov_b32_e32 v17, v20
	v_pk_add_f32 v[18:19], v[6:7], v[20:21]
	v_mov_b32_e32 v10, v11
	v_mov_b32_e32 v11, v6
	v_pk_add_f32 v[12:13], v[12:13], v[24:25] neg_lo:[0,1] neg_hi:[0,1]
	v_pk_add_f32 v[6:7], v[16:17], v[10:11] neg_lo:[0,1] neg_hi:[0,1]
	v_mov_b32_e32 v10, v18
	v_mov_b32_e32 v11, v1
	;; [unrolled: 1-line block ×5, first 2 shown]
	v_pk_add_f32 v[10:11], v[10:11], v[16:17] neg_lo:[0,1] neg_hi:[0,1]
	v_mov_b32_e32 v16, v6
	v_mov_b32_e32 v17, v13
	;; [unrolled: 1-line block ×4, first 2 shown]
	ds_write2_b64 v185, v[22:23], v[48:49] offset0:112 offset1:140
	v_pk_add_f32 v[16:17], v[16:17], v[20:21] neg_lo:[0,1] neg_hi:[0,1]
	v_mov_b32_e32 v20, v12
	v_pk_add_f32 v[22:23], v[6:7], v[4:5]
	v_mov_b32_e32 v7, v5
	v_mov_b32_e32 v9, v19
	;; [unrolled: 1-line block ×3, first 2 shown]
	v_pk_add_f32 v[6:7], v[20:21], v[6:7] neg_lo:[0,1] neg_hi:[0,1]
	v_pk_add_f32 v[20:21], v[14:15], v[18:19] neg_lo:[0,1] neg_hi:[0,1]
	v_mov_b32_e32 v19, v15
	v_pk_add_f32 v[14:15], v[8:9], v[0:1]
	v_pk_mul_f32 v[10:11], v[10:11], s[8:9]
	v_pk_add_f32 v[14:15], v[18:19], v[14:15]
	v_pk_mul_f32 v[16:17], v[16:17], s[18:19]
	v_pk_add_f32 v[2:3], v[2:3], v[14:15]
	v_pk_add_f32 v[18:19], v[22:23], v[12:13]
	v_pk_fma_f32 v[14:15], v[14:15], s[12:13], v[2:3] op_sel_hi:[1,0,1] neg_lo:[1,0,0] neg_hi:[1,0,0]
	v_pk_fma_f32 v[22:23], v[20:21], s[6:7], v[10:11]
	v_pk_fma_f32 v[24:25], v[6:7], s[16:17], v[16:17]
	v_pk_add_f32 v[22:23], v[22:23], v[14:15]
	v_pk_fma_f32 v[24:25], v[18:19], s[10:11], v[24:25] op_sel_hi:[1,0,1]
	v_mov_b32_e32 v55, v51
	v_pk_add_f32 v[26:27], v[22:23], v[24:25] neg_lo:[0,1] neg_hi:[0,1]
	v_pk_add_f32 v[22:23], v[22:23], v[24:25]
	v_mov_b32_e32 v25, v27
	v_mov_b32_e32 v24, v22
	ds_write_b64 v185, v[54:55] offset:1344
	ds_write2_b64 v167, v[2:3], v[24:25] offset1:28
	v_pk_add_f32 v[2:3], v[4:5], v[12:13] neg_lo:[0,1] neg_hi:[0,1]
	v_pk_mul_f32 v[4:5], v[20:21], s[6:7]
	v_pk_mul_f32 v[6:7], v[6:7], s[16:17]
	v_pk_add_f32 v[0:1], v[8:9], v[0:1] neg_lo:[0,1] neg_hi:[0,1]
	v_mov_b32_e32 v8, v4
	v_mov_b32_e32 v9, v11
	;; [unrolled: 1-line block ×6, first 2 shown]
	v_pk_fma_f32 v[8:9], v[0:1], s[2:3], v[8:9] op_sel_hi:[1,0,1] neg_lo:[1,0,1] neg_hi:[1,0,1]
	v_pk_fma_f32 v[12:13], v[2:3], s[14:15], v[12:13] op_sel_hi:[1,0,1] neg_lo:[1,0,1] neg_hi:[1,0,1]
	;; [unrolled: 1-line block ×4, first 2 shown]
	v_pk_add_f32 v[8:9], v[8:9], v[14:15]
	v_pk_fma_f32 v[12:13], v[18:19], s[10:11], v[12:13] op_sel_hi:[1,0,1]
	v_pk_add_f32 v[0:1], v[0:1], v[14:15]
	v_pk_fma_f32 v[2:3], v[18:19], s[10:11], v[2:3] op_sel_hi:[1,0,1]
	v_pk_add_f32 v[20:21], v[8:9], v[12:13] neg_lo:[0,1] neg_hi:[0,1]
	v_pk_add_f32 v[8:9], v[8:9], v[12:13]
	v_pk_add_f32 v[4:5], v[0:1], v[2:3]
	v_pk_add_f32 v[0:1], v[0:1], v[2:3] neg_lo:[0,1] neg_hi:[0,1]
	v_mov_b32_e32 v2, v8
	v_mov_b32_e32 v3, v21
	;; [unrolled: 1-line block ×7, first 2 shown]
	ds_write2_b64 v167, v[2:3], v[6:7] offset0:56 offset1:84
	ds_write2_b64 v167, v[4:5], v[20:21] offset0:112 offset1:140
	ds_write_b64 v167, v[26:27] offset:1344
	s_waitcnt lgkmcnt(0)
	s_barrier
	ds_read2_b64 v[0:3], v105 offset0:32 offset1:228
	ds_read2_b64 v[16:19], v199 offset0:40 offset1:236
	ds_read2_b64 v[26:29], v189 offset0:8 offset1:204
	ds_read2_b64 v[34:37], v194 offset0:48 offset1:244
	s_waitcnt lgkmcnt(3)
	v_mov_b32_e32 v4, v3
	v_pk_mul_f32 v[6:7], v[114:115], v[2:3] op_sel_hi:[1,0]
	s_nop 0
	v_pk_fma_f32 v[4:5], v[114:115], v[4:5], v[6:7] op_sel:[0,0,1] op_sel_hi:[1,1,0] neg_lo:[0,0,1] neg_hi:[0,0,1]
	v_pk_fma_f32 v[2:3], v[114:115], v[2:3], v[6:7] op_sel:[0,1,1] op_sel_hi:[1,1,0]
	ds_read2_b64 v[6:9], v193 offset1:196
	v_accvgpr_read_b32 v2, a128
	v_accvgpr_read_b32 v115, a84
	ds_read2_b64 v[40:43], v115 offset0:16 offset1:212
	v_mov_b32_e32 v5, v3
	s_waitcnt lgkmcnt(1)
	v_pk_mul_f32 v[10:11], v[2:3], v[6:7] op_sel_hi:[0,1]
	v_accvgpr_read_b32 v2, a126
	v_pk_fma_f32 v[12:13], v[116:117], v[6:7], v[10:11] op_sel:[0,0,1] op_sel_hi:[1,1,0]
	v_pk_fma_f32 v[14:15], v[116:117], v[6:7], v[10:11] op_sel:[0,0,1] op_sel_hi:[0,1,0] neg_lo:[0,0,1] neg_hi:[0,0,1]
	v_pk_mul_f32 v[10:11], v[2:3], v[8:9] op_sel_hi:[0,1]
	v_pk_fma_f32 v[6:7], v[104:105], v[8:9], v[10:11] op_sel:[0,0,1] op_sel_hi:[1,1,0]
	v_pk_fma_f32 v[8:9], v[104:105], v[8:9], v[10:11] op_sel:[0,0,1] op_sel_hi:[0,1,0] neg_lo:[0,0,1] neg_hi:[0,0,1]
	v_mov_b32_e32 v2, v17
	v_pk_mul_f32 v[10:11], v[102:103], v[16:17] op_sel_hi:[1,0]
	v_mov_b32_e32 v13, v15
	v_pk_fma_f32 v[20:21], v[102:103], v[2:3], v[10:11] op_sel:[0,0,1] op_sel_hi:[1,1,0] neg_lo:[0,0,1] neg_hi:[0,0,1]
	v_pk_fma_f32 v[24:25], v[102:103], v[16:17], v[10:11] op_sel:[0,1,1] op_sel_hi:[1,1,0]
	v_mov_b32_e32 v2, v19
	v_pk_mul_f32 v[10:11], v[94:95], v[18:19] op_sel_hi:[1,0]
	v_accvgpr_read_b32 v7, a119
	v_pk_fma_f32 v[16:17], v[94:95], v[18:19], v[10:11] op_sel:[0,1,1] op_sel_hi:[1,1,0]
	v_pk_fma_f32 v[10:11], v[94:95], v[2:3], v[10:11] op_sel:[0,0,1] op_sel_hi:[1,1,0] neg_lo:[0,0,1] neg_hi:[0,0,1]
	v_accvgpr_read_b32 v2, a122
	v_pk_mul_f32 v[18:19], v[2:3], v[26:27] op_sel_hi:[0,1]
	v_accvgpr_read_b32 v2, a114
	v_pk_fma_f32 v[30:31], v[96:97], v[26:27], v[18:19] op_sel:[0,0,1] op_sel_hi:[1,1,0]
	v_pk_fma_f32 v[32:33], v[96:97], v[26:27], v[18:19] op_sel:[0,0,1] op_sel_hi:[0,1,0] neg_lo:[0,0,1] neg_hi:[0,0,1]
	v_pk_mul_f32 v[22:23], v[2:3], v[28:29] op_sel_hi:[0,1]
	v_mov_b32_e32 v2, v35
	v_pk_mul_f32 v[26:27], v[82:83], v[34:35] op_sel_hi:[1,0]
	v_pk_fma_f32 v[18:19], v[84:85], v[28:29], v[22:23] op_sel:[0,0,1] op_sel_hi:[1,1,0]
	v_pk_fma_f32 v[22:23], v[84:85], v[28:29], v[22:23] op_sel:[0,0,1] op_sel_hi:[0,1,0] neg_lo:[0,0,1] neg_hi:[0,0,1]
	v_pk_fma_f32 v[28:29], v[82:83], v[2:3], v[26:27] op_sel:[0,0,1] op_sel_hi:[1,1,0] neg_lo:[0,0,1] neg_hi:[0,0,1]
	v_pk_fma_f32 v[34:35], v[82:83], v[34:35], v[26:27] op_sel:[0,1,1] op_sel_hi:[1,1,0]
	v_mov_b32_e32 v2, v37
	v_pk_mul_f32 v[26:27], v[70:71], v[36:37] op_sel_hi:[1,0]
	v_mov_b32_e32 v21, v25
	v_pk_fma_f32 v[36:37], v[70:71], v[36:37], v[26:27] op_sel:[0,1,1] op_sel_hi:[1,1,0]
	v_pk_fma_f32 v[26:27], v[70:71], v[2:3], v[26:27] op_sel:[0,0,1] op_sel_hi:[1,1,0] neg_lo:[0,0,1] neg_hi:[0,0,1]
	v_accvgpr_read_b32 v2, a106
	s_waitcnt lgkmcnt(0)
	v_pk_mul_f32 v[44:45], v[2:3], v[40:41] op_sel_hi:[0,1]
	v_pk_fma_f32 v[38:39], v[72:73], v[40:41], v[44:45] op_sel:[0,0,1] op_sel_hi:[1,1,0]
	v_pk_fma_f32 v[40:41], v[72:73], v[40:41], v[44:45] op_sel:[0,0,1] op_sel_hi:[0,1,0] neg_lo:[0,0,1] neg_hi:[0,0,1]
	v_pk_mul_f32 v[44:45], v[46:47], v[42:43] op_sel:[1,0]
	v_accvgpr_read_b32 v8, a117
	v_pk_fma_f32 v[48:49], v[46:47], v[42:43], v[44:45] op_sel:[0,0,1] op_sel_hi:[1,1,0]
	v_pk_fma_f32 v[50:51], v[46:47], v[42:43], v[44:45] op_sel:[0,0,1] op_sel_hi:[0,1,0] neg_lo:[0,0,1] neg_hi:[0,0,1]
	ds_read2_b64 v[42:45], v188 offset0:24 offset1:220
	v_mov_b32_e32 v49, v51
	v_mov_b32_e32 v11, v17
	;; [unrolled: 1-line block ×4, first 2 shown]
	s_waitcnt lgkmcnt(0)
	v_mov_b32_e32 v2, v43
	v_pk_mul_f32 v[52:53], v[46:47], v[42:43] op_sel_hi:[1,0]
	v_mov_b32_e32 v19, v23
	v_pk_fma_f32 v[66:67], v[46:47], v[2:3], v[52:53] op_sel:[0,0,1] op_sel_hi:[1,1,0] neg_lo:[0,0,1] neg_hi:[0,0,1]
	v_pk_fma_f32 v[68:69], v[46:47], v[42:43], v[52:53] op_sel:[0,1,1] op_sel_hi:[1,1,0]
	v_accvgpr_read_b32 v46, a124
	v_accvgpr_read_b32 v47, a125
	v_mov_b32_e32 v2, v45
	v_pk_mul_f32 v[42:43], v[46:47], v[44:45] op_sel_hi:[1,0]
	v_mov_b32_e32 v67, v69
	v_pk_fma_f32 v[70:71], v[46:47], v[44:45], v[42:43] op_sel:[0,1,1] op_sel_hi:[1,1,0]
	v_pk_fma_f32 v[74:75], v[46:47], v[2:3], v[42:43] op_sel:[0,0,1] op_sel_hi:[1,1,0] neg_lo:[0,0,1] neg_hi:[0,0,1]
	ds_read2_b64 v[42:45], v192 offset0:56 offset1:252
	v_accvgpr_read_b32 v2, a110
	v_mov_b32_e32 v75, v71
	v_mov_b32_e32 v27, v37
	;; [unrolled: 1-line block ×3, first 2 shown]
	s_waitcnt lgkmcnt(0)
	v_pk_mul_f32 v[46:47], v[2:3], v[44:45] op_sel_hi:[0,1]
	v_pk_fma_f32 v[76:77], v[60:61], v[44:45], v[46:47] op_sel:[0,0,1] op_sel_hi:[1,1,0]
	v_pk_fma_f32 v[78:79], v[60:61], v[44:45], v[46:47] op_sel:[0,0,1] op_sel_hi:[0,1,0] neg_lo:[0,0,1] neg_hi:[0,0,1]
	v_pk_mul_f32 v[44:45], v[2:3], v[42:43] op_sel_hi:[0,1]
	v_pk_fma_f32 v[52:53], v[60:61], v[42:43], v[44:45] op_sel:[0,0,1] op_sel_hi:[1,1,0]
	v_pk_fma_f32 v[46:47], v[60:61], v[42:43], v[44:45] op_sel:[0,0,1] op_sel_hi:[0,1,0] neg_lo:[0,0,1] neg_hi:[0,0,1]
	v_mov_b32_e32 v2, v1
	v_pk_mul_f32 v[42:43], v[58:59], v[0:1] op_sel_hi:[1,0]
	v_mov_b32_e32 v53, v47
	v_pk_fma_f32 v[0:1], v[58:59], v[0:1], v[42:43] op_sel:[0,1,1] op_sel_hi:[1,1,0]
	v_pk_fma_f32 v[80:81], v[58:59], v[2:3], v[42:43] op_sel:[0,0,1] op_sel_hi:[1,1,0] neg_lo:[0,0,1] neg_hi:[0,0,1]
	ds_read2_b64 v[42:45], v117 offset0:24 offset1:220
	v_mov_b32_e32 v81, v1
	v_mov_b32_e32 v77, v79
	v_pk_add_f32 v[2:3], v[4:5], v[74:75] neg_lo:[0,1] neg_hi:[0,1]
	v_mov_b32_e32 v116, v73
	s_waitcnt lgkmcnt(0)
	v_pk_mul_f32 v[54:55], v[58:59], v[44:45] op_sel:[1,0]
	v_mov_b32_e32 v114, v85
	v_pk_fma_f32 v[56:57], v[58:59], v[44:45], v[54:55] op_sel:[0,0,1] op_sel_hi:[1,1,0]
	v_pk_fma_f32 v[44:45], v[58:59], v[44:45], v[54:55] op_sel:[0,0,1] op_sel_hi:[0,1,0] neg_lo:[0,0,1] neg_hi:[0,0,1]
	v_mov_b32_e32 v57, v45
	ds_read2_b64 v[44:47], v244 offset1:196
	v_pk_add_f32 v[48:49], v[56:57], v[48:49] neg_lo:[0,1] neg_hi:[0,1]
	s_waitcnt lgkmcnt(0)
	v_pk_add_f32 v[82:83], v[44:45], v[52:53] neg_lo:[0,1] neg_hi:[0,1]
	v_pk_fma_f32 v[50:51], v[56:57], 2.0, v[48:49] op_sel_hi:[1,0,1] neg_lo:[0,0,1] neg_hi:[0,0,1]
	v_pk_add_f32 v[94:95], v[82:83], v[48:49] op_sel:[0,1] op_sel_hi:[1,0]
	v_pk_add_f32 v[48:49], v[82:83], v[48:49] op_sel:[0,1] op_sel_hi:[1,0] neg_lo:[0,1] neg_hi:[0,1]
	v_pk_fma_f32 v[44:45], v[44:45], 2.0, v[82:83] op_sel_hi:[1,0,1] neg_lo:[0,0,1] neg_hi:[0,0,1]
	v_mov_b32_e32 v95, v49
	v_pk_add_f32 v[102:103], v[44:45], v[50:51] neg_lo:[0,1] neg_hi:[0,1]
	v_pk_fma_f32 v[82:83], v[82:83], 2.0, v[94:95] op_sel_hi:[1,0,1] neg_lo:[0,0,1] neg_hi:[0,0,1]
	v_pk_fma_f32 v[44:45], v[44:45], 2.0, v[102:103] op_sel_hi:[1,0,1] neg_lo:[0,0,1] neg_hi:[0,0,1]
	ds_read2_b64 v[48:51], v85 offset0:8 offset1:204
	ds_read2_b64 v[52:55], v200 offset0:32 offset1:228
	;; [unrolled: 1-line block ×4, first 2 shown]
	s_waitcnt lgkmcnt(0)
	s_barrier
	ds_write2_b64 v244, v[44:45], v[82:83] offset1:196
	ds_write2_b64 v85, v[102:103], v[94:95] offset0:8 offset1:204
	v_pk_add_f32 v[0:1], v[46:47], v[76:77] neg_lo:[0,1] neg_hi:[0,1]
	v_pk_add_f32 v[44:45], v[80:81], v[66:67] neg_lo:[0,1] neg_hi:[0,1]
	v_pk_fma_f32 v[46:47], v[46:47], 2.0, v[0:1] op_sel_hi:[1,0,1] neg_lo:[0,0,1] neg_hi:[0,0,1]
	v_pk_add_f32 v[66:67], v[0:1], v[44:45]
	v_pk_add_f32 v[68:69], v[0:1], v[44:45] neg_lo:[0,1] neg_hi:[0,1]
	v_pk_fma_f32 v[44:45], v[80:81], 2.0, v[44:45] op_sel_hi:[1,0,1] neg_lo:[0,0,1] neg_hi:[0,0,1]
	v_mov_b32_e32 v67, v69
	v_pk_add_f32 v[44:45], v[46:47], v[44:45] op_sel:[0,1] op_sel_hi:[1,0] neg_lo:[0,1] neg_hi:[0,1]
	v_pk_fma_f32 v[0:1], v[0:1], 2.0, v[66:67] op_sel_hi:[1,0,1] neg_lo:[0,0,1] neg_hi:[0,0,1]
	v_pk_fma_f32 v[46:47], v[46:47], 2.0, v[44:45] op_sel_hi:[1,0,1] neg_lo:[0,0,1] neg_hi:[0,0,1]
	ds_write2_b64 v73, v[46:47], v[0:1] offset0:16 offset1:212
	v_pk_add_f32 v[0:1], v[48:49], v[12:13] neg_lo:[0,1] neg_hi:[0,1]
	ds_write2_b64 v117, v[44:45], v[66:67] offset0:24 offset1:220
	v_pk_add_f32 v[12:13], v[0:1], v[2:3]
	v_pk_add_f32 v[14:15], v[0:1], v[2:3] neg_lo:[0,1] neg_hi:[0,1]
	v_pk_fma_f32 v[2:3], v[4:5], 2.0, v[2:3] op_sel_hi:[1,0,1] neg_lo:[0,0,1] neg_hi:[0,0,1]
	v_mov_b32_e32 v13, v15
	v_pk_fma_f32 v[4:5], v[0:1], 2.0, v[12:13] op_sel_hi:[1,0,1] neg_lo:[0,0,1] neg_hi:[0,0,1]
	v_pk_fma_f32 v[0:1], v[48:49], 2.0, v[0:1] op_sel_hi:[1,0,1] neg_lo:[0,0,1] neg_hi:[0,0,1]
	v_accvgpr_read_b32 v14, a111
	v_pk_add_f32 v[2:3], v[0:1], v[2:3] op_sel:[0,1] op_sel_hi:[1,0] neg_lo:[0,1] neg_hi:[0,1]
	s_nop 0
	v_pk_fma_f32 v[0:1], v[0:1], 2.0, v[2:3] op_sel_hi:[1,0,1] neg_lo:[0,0,1] neg_hi:[0,0,1]
	ds_write2_b64 v7, v[0:1], v[4:5] offset0:32 offset1:228
	ds_write2_b64 v245, v[2:3], v[12:13] offset0:40 offset1:236
	v_accvgpr_read_b32 v4, a108
	v_accvgpr_read_b32 v5, a109
	v_mov_b32_e32 v0, v53
	v_pk_mul_f32 v[2:3], v[4:5], v[52:53] op_sel_hi:[1,0]
	v_mov_b32_e32 v7, v9
	v_pk_fma_f32 v[0:1], v[4:5], v[0:1], v[2:3] op_sel:[0,0,1] op_sel_hi:[1,1,0] neg_lo:[0,0,1] neg_hi:[0,0,1]
	v_pk_fma_f32 v[2:3], v[4:5], v[52:53], v[2:3] op_sel:[0,1,1] op_sel_hi:[1,1,0]
	v_accvgpr_read_b32 v12, a100
	v_mov_b32_e32 v1, v3
	v_pk_add_f32 v[2:3], v[50:51], v[6:7] neg_lo:[0,1] neg_hi:[0,1]
	v_pk_add_f32 v[0:1], v[20:21], v[0:1] neg_lo:[0,1] neg_hi:[0,1]
	v_accvgpr_read_b32 v13, a101
	v_pk_add_f32 v[4:5], v[2:3], v[0:1]
	v_pk_add_f32 v[6:7], v[2:3], v[0:1] neg_lo:[0,1] neg_hi:[0,1]
	v_pk_fma_f32 v[0:1], v[20:21], 2.0, v[0:1] op_sel_hi:[1,0,1] neg_lo:[0,0,1] neg_hi:[0,0,1]
	v_mov_b32_e32 v5, v7
	v_pk_fma_f32 v[6:7], v[50:51], 2.0, v[2:3] op_sel_hi:[1,0,1] neg_lo:[0,0,1] neg_hi:[0,0,1]
	v_pk_fma_f32 v[2:3], v[2:3], 2.0, v[4:5] op_sel_hi:[1,0,1] neg_lo:[0,0,1] neg_hi:[0,0,1]
	v_pk_add_f32 v[0:1], v[6:7], v[0:1] op_sel:[0,1] op_sel_hi:[1,0] neg_lo:[0,1] neg_hi:[0,1]
	s_nop 0
	v_pk_fma_f32 v[6:7], v[6:7], 2.0, v[0:1] op_sel_hi:[1,0,1] neg_lo:[0,0,1] neg_hi:[0,0,1]
	ds_write2_b64 v8, v[6:7], v[2:3] offset0:48 offset1:244
	v_accvgpr_read_b32 v6, a104
	v_accvgpr_read_b32 v2, a120
	;; [unrolled: 1-line block ×3, first 2 shown]
	ds_write2_b64 v2, v[0:1], v[4:5] offset0:56 offset1:252
	v_mov_b32_e32 v0, v55
	v_pk_mul_f32 v[2:3], v[6:7], v[54:55] op_sel_hi:[1,0]
	v_accvgpr_read_b32 v8, a115
	v_pk_fma_f32 v[4:5], v[6:7], v[54:55], v[2:3] op_sel:[0,1,1] op_sel_hi:[1,1,0]
	v_pk_fma_f32 v[0:1], v[6:7], v[0:1], v[2:3] op_sel:[0,0,1] op_sel_hi:[1,1,0] neg_lo:[0,0,1] neg_hi:[0,0,1]
	v_pk_add_f32 v[2:3], v[56:57], v[30:31] neg_lo:[0,1] neg_hi:[0,1]
	v_mov_b32_e32 v1, v5
	v_pk_add_f32 v[0:1], v[10:11], v[0:1] neg_lo:[0,1] neg_hi:[0,1]
	s_nop 0
	v_pk_add_f32 v[4:5], v[2:3], v[0:1]
	v_pk_add_f32 v[6:7], v[2:3], v[0:1] neg_lo:[0,1] neg_hi:[0,1]
	v_pk_fma_f32 v[0:1], v[10:11], 2.0, v[0:1] op_sel_hi:[1,0,1] neg_lo:[0,0,1] neg_hi:[0,0,1]
	v_mov_b32_e32 v5, v7
	v_pk_fma_f32 v[6:7], v[2:3], 2.0, v[4:5] op_sel_hi:[1,0,1] neg_lo:[0,0,1] neg_hi:[0,0,1]
	v_pk_fma_f32 v[2:3], v[56:57], 2.0, v[2:3] op_sel_hi:[1,0,1] neg_lo:[0,0,1] neg_hi:[0,0,1]
	s_nop 0
	v_pk_add_f32 v[0:1], v[2:3], v[0:1] op_sel:[0,1] op_sel_hi:[1,0] neg_lo:[0,1] neg_hi:[0,1]
	ds_write2_b64 v14, v[0:1], v[4:5] offset0:8 offset1:204
	v_pk_fma_f32 v[2:3], v[2:3], 2.0, v[0:1] op_sel_hi:[1,0,1] neg_lo:[0,0,1] neg_hi:[0,0,1]
	ds_write2_b64 v8, v[2:3], v[6:7] offset1:196
	v_accvgpr_read_b32 v8, a102
	v_accvgpr_read_b32 v9, a103
	v_mov_b32_e32 v2, v63
	v_pk_mul_f32 v[6:7], v[8:9], v[62:63] op_sel_hi:[1,0]
	v_accvgpr_read_b32 v14, a112
	v_pk_fma_f32 v[2:3], v[8:9], v[2:3], v[6:7] op_sel:[0,0,1] op_sel_hi:[1,1,0] neg_lo:[0,0,1] neg_hi:[0,0,1]
	v_pk_fma_f32 v[6:7], v[8:9], v[62:63], v[6:7] op_sel:[0,1,1] op_sel_hi:[1,1,0]
	v_pk_mul_f32 v[8:9], v[12:13], v[64:65] op_sel_hi:[1,0]
	v_mov_b32_e32 v6, v65
	v_mov_b32_e32 v3, v7
	v_pk_fma_f32 v[10:11], v[12:13], v[64:65], v[8:9] op_sel:[0,1,1] op_sel_hi:[1,1,0]
	v_pk_fma_f32 v[8:9], v[12:13], v[6:7], v[8:9] op_sel:[0,0,1] op_sel_hi:[1,1,0] neg_lo:[0,0,1] neg_hi:[0,0,1]
	v_pk_add_f32 v[6:7], v[58:59], v[18:19] neg_lo:[0,1] neg_hi:[0,1]
	v_pk_add_f32 v[2:3], v[28:29], v[2:3] neg_lo:[0,1] neg_hi:[0,1]
	v_mov_b32_e32 v9, v11
	v_pk_add_f32 v[10:11], v[6:7], v[2:3]
	v_pk_add_f32 v[12:13], v[6:7], v[2:3] neg_lo:[0,1] neg_hi:[0,1]
	v_pk_add_f32 v[8:9], v[26:27], v[8:9] neg_lo:[0,1] neg_hi:[0,1]
	v_mov_b32_e32 v11, v13
	v_pk_add_f32 v[12:13], v[42:43], v[38:39] neg_lo:[0,1] neg_hi:[0,1]
	v_pk_fma_f32 v[2:3], v[28:29], 2.0, v[2:3] op_sel_hi:[1,0,1] neg_lo:[0,0,1] neg_hi:[0,0,1]
	v_pk_add_f32 v[0:1], v[12:13], v[8:9]
	v_pk_add_f32 v[4:5], v[12:13], v[8:9] neg_lo:[0,1] neg_hi:[0,1]
	s_nop 0
	v_mov_b32_e32 v1, v5
	v_pk_fma_f32 v[4:5], v[6:7], 2.0, v[10:11] op_sel_hi:[1,0,1] neg_lo:[0,0,1] neg_hi:[0,0,1]
	v_pk_fma_f32 v[6:7], v[58:59], 2.0, v[6:7] op_sel_hi:[1,0,1] neg_lo:[0,0,1] neg_hi:[0,0,1]
	s_nop 0
	v_pk_add_f32 v[2:3], v[6:7], v[2:3] op_sel:[0,1] op_sel_hi:[1,0] neg_lo:[0,1] neg_hi:[0,1]
	s_nop 0
	v_pk_fma_f32 v[6:7], v[6:7], 2.0, v[2:3] op_sel_hi:[1,0,1] neg_lo:[0,0,1] neg_hi:[0,0,1]
	ds_write2_b64 v14, v[6:7], v[4:5] offset0:16 offset1:212
	v_accvgpr_read_b32 v4, a113
	ds_write2_b64 v4, v[2:3], v[10:11] offset0:24 offset1:220
	v_pk_fma_f32 v[4:5], v[42:43], 2.0, v[12:13] op_sel_hi:[1,0,1] neg_lo:[0,0,1] neg_hi:[0,0,1]
	v_pk_fma_f32 v[6:7], v[26:27], 2.0, v[8:9] op_sel_hi:[1,0,1] neg_lo:[0,0,1] neg_hi:[0,0,1]
	;; [unrolled: 1-line block ×3, first 2 shown]
	v_pk_add_f32 v[6:7], v[4:5], v[6:7] op_sel:[0,1] op_sel_hi:[1,0] neg_lo:[0,1] neg_hi:[0,1]
	v_accvgpr_read_b32 v8, a116
	v_pk_fma_f32 v[4:5], v[4:5], 2.0, v[6:7] op_sel_hi:[1,0,1] neg_lo:[0,0,1] neg_hi:[0,0,1]
	ds_write2_b64 v8, v[4:5], v[2:3] offset0:32 offset1:228
	v_accvgpr_read_b32 v2, a118
	ds_write2_b64 v2, v[6:7], v[0:1] offset0:40 offset1:236
	s_waitcnt lgkmcnt(0)
	s_barrier
	ds_read2_b64 v[2:5], v73 offset0:16 offset1:212
	ds_read2_b64 v[10:13], v105 offset0:32 offset1:228
	;; [unrolled: 1-line block ×3, first 2 shown]
	ds_read2_b64 v[36:39], v193 offset1:196
	ds_read2_b64 v[40:43], v200 offset0:32 offset1:228
	s_waitcnt lgkmcnt(4)
	v_mov_b32_e32 v0, v3
	v_pk_mul_f32 v[6:7], v[98:99], v[2:3] op_sel_hi:[1,0]
	s_waitcnt lgkmcnt(2)
	v_mul_f32_e32 v22, v122, v28
	v_pk_fma_f32 v[24:25], v[98:99], v[0:1], v[6:7] op_sel:[0,0,1] op_sel_hi:[1,1,0] neg_lo:[0,0,1] neg_hi:[0,0,1]
	v_pk_fma_f32 v[0:1], v[98:99], v[2:3], v[6:7] op_sel:[0,1,1] op_sel_hi:[1,1,0]
	v_pk_mul_f32 v[2:3], v[100:101], v[10:11] op_sel_hi:[1,0]
	v_mov_b32_e32 v0, v11
	v_pk_fma_f32 v[20:21], v[100:101], v[0:1], v[2:3] op_sel:[0,0,1] op_sel_hi:[1,1,0] neg_lo:[0,0,1] neg_hi:[0,0,1]
	v_mul_f32_e32 v0, v123, v28
	v_fma_f32 v8, v122, v29, -v0
	s_waitcnt lgkmcnt(1)
	v_mul_f32_e32 v0, v125, v36
	v_pk_fma_f32 v[2:3], v[100:101], v[10:11], v[2:3] op_sel:[0,1,1] op_sel_hi:[1,1,0]
	v_fma_f32 v10, v124, v37, -v0
	v_mov_b32_e32 v0, v5
	v_pk_mul_f32 v[6:7], v[118:119], v[4:5] op_sel_hi:[1,0]
	v_mul_f32_e32 v2, v137, v38
	v_pk_fma_f32 v[4:5], v[118:119], v[4:5], v[6:7] op_sel:[0,1,1] op_sel_hi:[1,1,0]
	v_pk_fma_f32 v[16:17], v[118:119], v[0:1], v[6:7] op_sel:[0,0,1] op_sel_hi:[1,1,0] neg_lo:[0,0,1] neg_hi:[0,0,1]
	v_pk_mul_f32 v[6:7], v[120:121], v[12:13] op_sel_hi:[1,0]
	v_mov_b32_e32 v0, v13
	v_pk_fma_f32 v[12:13], v[120:121], v[12:13], v[6:7] op_sel:[0,1,1] op_sel_hi:[1,1,0]
	v_mul_f32_e32 v32, v124, v36
	v_mul_f32_e32 v34, v125, v37
	v_pk_fma_f32 v[14:15], v[120:121], v[0:1], v[6:7] op_sel:[0,0,1] op_sel_hi:[1,1,0] neg_lo:[0,0,1] neg_hi:[0,0,1]
	v_mul_f32_e32 v12, v134, v30
	v_mul_f32_e32 v0, v135, v30
	;; [unrolled: 1-line block ×4, first 2 shown]
	v_fma_f32 v4, v136, v39, -v2
	ds_read2_b64 v[36:39], v115 offset0:16 offset1:212
	v_mul_f32_e32 v26, v123, v29
	v_mul_f32_e32 v18, v135, v31
	v_fma_f32 v0, v134, v31, -v0
	v_mov_b32_e32 v21, v3
	s_waitcnt lgkmcnt(0)
	v_mov_b32_e32 v2, v37
	v_pk_mul_f32 v[6:7], v[90:91], v[36:37] op_sel_hi:[1,0]
	v_mov_b32_e32 v15, v13
	v_pk_fma_f32 v[44:45], v[90:91], v[2:3], v[6:7] op_sel:[0,0,1] op_sel_hi:[1,1,0] neg_lo:[0,0,1] neg_hi:[0,0,1]
	v_pk_fma_f32 v[6:7], v[90:91], v[36:37], v[6:7] op_sel:[0,1,1] op_sel_hi:[1,1,0]
	v_mov_b32_e32 v2, v41
	v_pk_mul_f32 v[36:37], v[92:93], v[40:41] op_sel_hi:[1,0]
	v_mov_b32_e32 v45, v7
	v_pk_fma_f32 v[46:47], v[92:93], v[2:3], v[36:37] op_sel:[0,0,1] op_sel_hi:[1,1,0] neg_lo:[0,0,1] neg_hi:[0,0,1]
	v_pk_fma_f32 v[48:49], v[92:93], v[40:41], v[36:37] op_sel:[0,1,1] op_sel_hi:[1,1,0]
	v_mov_b32_e32 v2, v39
	v_pk_mul_f32 v[36:37], v[86:87], v[38:39] op_sel_hi:[1,0]
	v_mov_b32_e32 v29, v16
	v_pk_fma_f32 v[50:51], v[86:87], v[38:39], v[36:37] op_sel:[0,1,1] op_sel_hi:[1,1,0]
	v_pk_fma_f32 v[68:69], v[86:87], v[2:3], v[36:37] op_sel:[0,0,1] op_sel_hi:[1,1,0] neg_lo:[0,0,1] neg_hi:[0,0,1]
	v_mov_b32_e32 v2, v43
	v_pk_mul_f32 v[36:37], v[88:89], v[42:43] op_sel_hi:[1,0]
	v_mov_b32_e32 v13, v14
	v_pk_fma_f32 v[52:53], v[88:89], v[42:43], v[36:37] op_sel:[0,1,1] op_sel_hi:[1,1,0]
	v_pk_fma_f32 v[72:73], v[88:89], v[2:3], v[36:37] op_sel:[0,0,1] op_sel_hi:[1,1,0] neg_lo:[0,0,1] neg_hi:[0,0,1]
	ds_read2_b64 v[36:39], v117 offset0:24 offset1:220
	v_mov_b32_e32 v31, v72
	v_mov_b32_e32 v19, v68
	;; [unrolled: 1-line block ×4, first 2 shown]
	s_waitcnt lgkmcnt(0)
	v_mov_b32_e32 v2, v37
	v_pk_mul_f32 v[40:41], v[130:131], v[36:37] op_sel_hi:[1,0]
	v_mov_b32_e32 v23, v20
	v_pk_fma_f32 v[54:55], v[130:131], v[2:3], v[40:41] op_sel:[0,0,1] op_sel_hi:[1,1,0] neg_lo:[0,0,1] neg_hi:[0,0,1]
	v_pk_fma_f32 v[56:57], v[130:131], v[36:37], v[40:41] op_sel:[0,1,1] op_sel_hi:[1,1,0]
	ds_read2_b64 v[40:43], v199 offset0:40 offset1:236
	v_pk_add_f32 v[66:67], v[20:21], v[44:45] neg_lo:[0,1] neg_hi:[0,1]
	v_mov_b32_e32 v27, v44
	v_mov_b32_e32 v25, v1
	;; [unrolled: 1-line block ×3, first 2 shown]
	s_waitcnt lgkmcnt(0)
	v_mov_b32_e32 v2, v41
	v_pk_mul_f32 v[36:37], v[132:133], v[40:41] op_sel_hi:[1,0]
	v_mov_b32_e32 v17, v5
	v_pk_fma_f32 v[74:75], v[132:133], v[2:3], v[36:37] op_sel:[0,0,1] op_sel_hi:[1,1,0] neg_lo:[0,0,1] neg_hi:[0,0,1]
	v_pk_fma_f32 v[58:59], v[132:133], v[40:41], v[36:37] op_sel:[0,1,1] op_sel_hi:[1,1,0]
	v_mov_b32_e32 v2, v39
	v_pk_mul_f32 v[36:37], v[126:127], v[38:39] op_sel_hi:[1,0]
	v_mov_b32_e32 v69, v51
	v_pk_fma_f32 v[60:61], v[126:127], v[38:39], v[36:37] op_sel:[0,1,1] op_sel_hi:[1,1,0]
	v_pk_fma_f32 v[76:77], v[126:127], v[2:3], v[36:37] op_sel:[0,0,1] op_sel_hi:[1,1,0] neg_lo:[0,0,1] neg_hi:[0,0,1]
	v_mov_b32_e32 v2, v43
	v_pk_mul_f32 v[36:37], v[128:129], v[42:43] op_sel_hi:[1,0]
	v_mov_b32_e32 v73, v53
	v_pk_fma_f32 v[62:63], v[128:129], v[42:43], v[36:37] op_sel:[0,1,1] op_sel_hi:[1,1,0]
	v_pk_fma_f32 v[78:79], v[128:129], v[2:3], v[36:37] op_sel:[0,0,1] op_sel_hi:[1,1,0] neg_lo:[0,0,1] neg_hi:[0,0,1]
	ds_read2_b64 v[36:39], v192 offset0:56 offset1:252
	ds_read2_b64 v[40:43], v189 offset0:8 offset1:204
	v_mov_b32_e32 v79, v63
	v_pk_add_f32 v[62:63], v[20:21], v[44:45]
	v_pk_add_f32 v[44:45], v[12:13], v[18:19]
	s_waitcnt lgkmcnt(1)
	v_mul_f32_e32 v2, v139, v36
	v_fma_f32 v48, v138, v37, -v2
	s_waitcnt lgkmcnt(0)
	v_mul_f32_e32 v2, v141, v40
	v_fma_f32 v52, v140, v41, -v2
	v_mul_f32_e32 v2, v143, v38
	v_mul_f32_e32 v80, v138, v36
	;; [unrolled: 1-line block ×3, first 2 shown]
	v_fma_f32 v2, v142, v39, -v2
	v_mul_f32_e32 v88, v142, v38
	v_mul_f32_e32 v90, v143, v39
	ds_read2_b64 v[36:39], v188 offset0:24 offset1:220
	v_mul_f32_e32 v6, v145, v42
	v_mul_f32_e32 v84, v140, v40
	v_fma_f32 v6, v144, v43, -v6
	v_mul_f32_e32 v92, v144, v42
	v_mul_f32_e32 v94, v145, v43
	s_waitcnt lgkmcnt(0)
	v_mov_b32_e32 v40, v37
	v_pk_mul_f32 v[42:43], v[110:111], v[36:37] op_sel_hi:[1,0]
	v_mul_f32_e32 v86, v141, v41
	v_pk_fma_f32 v[96:97], v[110:111], v[40:41], v[42:43] op_sel:[0,0,1] op_sel_hi:[1,1,0] neg_lo:[0,0,1] neg_hi:[0,0,1]
	v_pk_fma_f32 v[36:37], v[110:111], v[36:37], v[42:43] op_sel:[0,1,1] op_sel_hi:[1,1,0]
	ds_read2_b64 v[40:43], v198 offset0:40 offset1:236
	v_mov_b32_e32 v75, v59
	v_pk_add_f32 v[58:59], v[32:33], v[34:35]
	v_mov_b32_e32 v1, v44
	v_mov_b32_e32 v85, v54
	s_waitcnt lgkmcnt(0)
	v_mov_b32_e32 v36, v41
	v_pk_mul_f32 v[64:65], v[112:113], v[40:41] op_sel_hi:[1,0]
	v_mov_b32_e32 v81, v74
	v_pk_fma_f32 v[98:99], v[112:113], v[36:37], v[64:65] op_sel:[0,0,1] op_sel_hi:[1,1,0] neg_lo:[0,0,1] neg_hi:[0,0,1]
	v_pk_fma_f32 v[40:41], v[112:113], v[40:41], v[64:65] op_sel:[0,1,1] op_sel_hi:[1,1,0]
	v_mov_b32_e32 v36, v39
	v_pk_mul_f32 v[64:65], v[106:107], v[38:39] op_sel_hi:[1,0]
	v_mov_b32_e32 v87, v98
	v_pk_fma_f32 v[38:39], v[106:107], v[38:39], v[64:65] op_sel:[0,1,1] op_sel_hi:[1,1,0]
	v_pk_fma_f32 v[100:101], v[106:107], v[36:37], v[64:65] op_sel:[0,0,1] op_sel_hi:[1,1,0] neg_lo:[0,0,1] neg_hi:[0,0,1]
	v_mov_b32_e32 v36, v43
	v_pk_mul_f32 v[64:65], v[108:109], v[42:43] op_sel_hi:[1,0]
	v_mov_b32_e32 v101, v39
	v_pk_add_f32 v[38:39], v[28:29], v[30:31]
	v_pk_fma_f32 v[42:43], v[108:109], v[42:43], v[64:65] op_sel:[0,1,1] op_sel_hi:[1,1,0]
	v_pk_fma_f32 v[102:103], v[108:109], v[36:37], v[64:65] op_sel:[0,0,1] op_sel_hi:[1,1,0] neg_lo:[0,0,1] neg_hi:[0,0,1]
	v_pk_add_f32 v[64:65], v[22:23], v[26:27]
	v_mov_b32_e32 v5, v38
	v_mov_b32_e32 v83, v96
	;; [unrolled: 1-line block ×6, first 2 shown]
	v_pk_add_f32 v[56:57], v[24:25], v[46:47]
	v_pk_add_f32 v[60:61], v[24:25], v[46:47] neg_lo:[0,1] neg_hi:[0,1]
	v_mov_b32_e32 v11, v58
	v_mov_b32_e32 v9, v64
	v_pk_add_f32 v[36:37], v[16:17], v[72:73]
	v_pk_add_f32 v[40:41], v[16:17], v[72:73] neg_lo:[0,1] neg_hi:[0,1]
	v_pk_add_f32 v[46:47], v[14:15], v[68:69] neg_lo:[0,1] neg_hi:[0,1]
	;; [unrolled: 1-line block ×3, first 2 shown]
	v_pk_add_f32 v[24:25], v[84:85], v[86:87]
	v_pk_add_f32 v[32:33], v[80:81], v[82:83]
	v_mov_b32_e32 v103, v43
	v_pk_add_f32 v[104:105], v[10:11], v[8:9] neg_lo:[0,1] neg_hi:[0,1]
	v_pk_add_f32 v[42:43], v[14:15], v[68:69]
	v_mov_b32_e32 v12, v72
	v_mov_b32_e32 v13, v41
	;; [unrolled: 1-line block ×14, first 2 shown]
	v_pk_add_f32 v[108:109], v[12:13], v[14:15] neg_lo:[0,1] neg_hi:[0,1]
	v_mov_b32_e32 v12, v40
	v_mov_b32_e32 v13, v73
	;; [unrolled: 1-line block ×4, first 2 shown]
	v_pk_add_f32 v[28:29], v[54:55], v[98:99] neg_lo:[0,1] neg_hi:[0,1]
	v_pk_add_f32 v[30:31], v[74:75], v[96:97]
	v_pk_add_f32 v[34:35], v[74:75], v[96:97] neg_lo:[0,1] neg_hi:[0,1]
	v_pk_add_f32 v[74:75], v[52:53], v[48:49] neg_lo:[0,1] neg_hi:[0,1]
	v_pk_add_f32 v[8:9], v[8:9], v[10:11]
	v_pk_add_f32 v[10:11], v[104:105], v[66:67]
	v_pk_add_f32 v[106:107], v[20:21], v[22:23] neg_lo:[0,1] neg_hi:[0,1]
	v_mov_b32_e32 v20, v60
	v_mov_b32_e32 v21, v105
	;; [unrolled: 1-line block ×4, first 2 shown]
	v_pk_add_f32 v[50:51], v[12:13], v[14:15] neg_lo:[0,1] neg_hi:[0,1]
	v_mov_b32_e32 v12, v74
	v_mov_b32_e32 v13, v29
	;; [unrolled: 1-line block ×6, first 2 shown]
	v_pk_add_f32 v[84:85], v[10:11], v[60:61]
	v_pk_add_f32 v[10:11], v[64:65], v[58:59]
	v_pk_add_f32 v[70:71], v[20:21], v[22:23] neg_lo:[0,1] neg_hi:[0,1]
	v_pk_add_f32 v[80:81], v[12:13], v[14:15] neg_lo:[0,1] neg_hi:[0,1]
	v_mov_b32_e32 v12, v28
	v_mov_b32_e32 v13, v75
	;; [unrolled: 1-line block ×6, first 2 shown]
	v_pk_add_f32 v[22:23], v[88:89], v[90:91]
	v_mov_b32_e32 v64, v10
	v_pk_add_f32 v[88:89], v[8:9], v[10:11]
	v_mov_b32_e32 v8, v57
	v_pk_add_f32 v[18:19], v[54:55], v[98:99]
	v_pk_add_f32 v[54:55], v[12:13], v[14:15] neg_lo:[0,1] neg_hi:[0,1]
	v_pk_add_f32 v[14:15], v[92:93], v[94:95]
	v_mov_b32_e32 v58, v10
	v_mov_b32_e32 v87, v9
	v_pk_add_f32 v[90:91], v[8:9], v[64:65] neg_lo:[0,1] neg_hi:[0,1]
	ds_read2_b64 v[8:11], v244 offset1:196
	v_mov_b32_e32 v7, v14
	v_mov_b32_e32 v3, v22
	v_pk_add_f32 v[12:13], v[76:77], v[102:103]
	v_pk_add_f32 v[16:17], v[76:77], v[102:103] neg_lo:[0,1] neg_hi:[0,1]
	v_pk_add_f32 v[26:27], v[78:79], v[100:101] neg_lo:[0,1] neg_hi:[0,1]
	;; [unrolled: 1-line block ×3, first 2 shown]
	v_pk_add_f32 v[20:21], v[78:79], v[100:101]
	v_mov_b32_e32 v68, v76
	v_mov_b32_e32 v69, v17
	;; [unrolled: 1-line block ×5, first 2 shown]
	v_pk_add_f32 v[78:79], v[68:69], v[78:79] neg_lo:[0,1] neg_hi:[0,1]
	v_mov_b32_e32 v68, v16
	v_mov_b32_e32 v69, v77
	;; [unrolled: 1-line block ×4, first 2 shown]
	v_pk_add_f32 v[86:87], v[58:59], v[86:87] neg_lo:[0,1] neg_hi:[0,1]
	v_pk_add_f32 v[68:69], v[68:69], v[82:83] neg_lo:[0,1] neg_hi:[0,1]
	v_pk_mul_f32 v[82:83], v[106:107], s[18:19]
	v_pk_mul_f32 v[86:87], v[86:87], s[8:9]
	s_waitcnt lgkmcnt(0)
	v_pk_add_f32 v[92:93], v[8:9], v[88:89]
	v_mov_b32_e32 v1, v0
	v_mov_b32_e32 v0, v43
	;; [unrolled: 1-line block ×4, first 2 shown]
	v_pk_fma_f32 v[8:9], v[88:89], s[12:13], v[92:93] op_sel_hi:[1,0,1] neg_lo:[1,0,0] neg_hi:[1,0,0]
	v_pk_fma_f32 v[88:89], v[90:91], s[6:7], v[86:87]
	v_pk_fma_f32 v[94:95], v[70:71], s[16:17], v[82:83]
	v_pk_add_f32 v[0:1], v[0:1], v[4:5]
	v_pk_add_f32 v[4:5], v[44:45], v[38:39]
	;; [unrolled: 1-line block ×3, first 2 shown]
	v_pk_fma_f32 v[94:95], v[84:85], s[10:11], v[94:95] op_sel_hi:[1,0,1]
	v_mov_b32_e32 v38, v4
	v_mov_b32_e32 v44, v4
	v_pk_add_f32 v[4:5], v[0:1], v[4:5]
	v_pk_add_f32 v[96:97], v[88:89], v[94:95]
	v_pk_add_f32 v[88:89], v[88:89], v[94:95] neg_lo:[0,1] neg_hi:[0,1]
	v_pk_add_f32 v[94:95], v[10:11], v[4:5]
	v_pk_add_f32 v[10:11], v[72:73], v[46:47]
	v_mov_b32_e32 v0, v37
	v_pk_add_f32 v[72:73], v[10:11], v[40:41]
	v_mov_b32_e32 v10, v43
	v_mov_b32_e32 v11, v1
	v_pk_add_f32 v[10:11], v[38:39], v[10:11] neg_lo:[0,1] neg_hi:[0,1]
	v_pk_mul_f32 v[98:99], v[108:109], s[18:19]
	v_pk_add_f32 v[0:1], v[0:1], v[44:45] neg_lo:[0,1] neg_hi:[0,1]
	v_pk_mul_f32 v[100:101], v[10:11], s[8:9]
	v_pk_fma_f32 v[4:5], v[4:5], s[12:13], v[94:95] op_sel_hi:[1,0,1] neg_lo:[1,0,0] neg_hi:[1,0,0]
	v_pk_fma_f32 v[10:11], v[0:1], s[6:7], v[100:101]
	v_pk_fma_f32 v[102:103], v[50:51], s[16:17], v[98:99]
	v_pk_add_f32 v[10:11], v[10:11], v[4:5]
	v_pk_fma_f32 v[102:103], v[72:73], s[10:11], v[102:103] op_sel_hi:[1,0,1]
	v_mov_b32_e32 v49, v52
	v_pk_add_f32 v[104:105], v[10:11], v[102:103]
	v_pk_add_f32 v[102:103], v[10:11], v[102:103] neg_lo:[0,1] neg_hi:[0,1]
	v_mov_b32_e32 v11, v48
	v_mov_b32_e32 v10, v31
	;; [unrolled: 1-line block ×5, first 2 shown]
	v_pk_add_f32 v[48:49], v[10:11], v[48:49]
	v_mov_b32_e32 v10, v96
	v_mov_b32_e32 v11, v89
	v_pk_add_f32 v[52:53], v[64:65], v[58:59] neg_lo:[0,1] neg_hi:[0,1]
	v_pk_mul_f32 v[56:57], v[70:71], s[16:17]
	v_pk_mul_f32 v[58:59], v[90:91], s[6:7]
	ds_write_b64 v244, v[10:11] offset:6272
	v_pk_add_f32 v[10:11], v[66:67], v[60:61] neg_lo:[0,1] neg_hi:[0,1]
	v_mov_b32_e32 v60, v58
	v_mov_b32_e32 v61, v87
	;; [unrolled: 1-line block ×6, first 2 shown]
	v_pk_fma_f32 v[60:61], v[52:53], s[2:3], v[60:61] op_sel_hi:[1,0,1] neg_lo:[1,0,1] neg_hi:[1,0,1]
	v_pk_fma_f32 v[62:63], v[10:11], s[14:15], v[62:63] op_sel_hi:[1,0,1] neg_lo:[1,0,1] neg_hi:[1,0,1]
	;; [unrolled: 1-line block ×4, first 2 shown]
	v_pk_add_f32 v[60:61], v[60:61], v[8:9]
	v_pk_add_f32 v[8:9], v[52:53], v[8:9]
	v_pk_fma_f32 v[10:11], v[84:85], s[10:11], v[10:11] op_sel_hi:[1,0,1]
	v_pk_fma_f32 v[62:63], v[84:85], s[10:11], v[62:63] op_sel_hi:[1,0,1]
	v_pk_add_f32 v[52:53], v[8:9], v[10:11] neg_lo:[0,1] neg_hi:[0,1]
	v_pk_add_f32 v[8:9], v[8:9], v[10:11]
	v_pk_add_f32 v[64:65], v[60:61], v[62:63]
	v_pk_add_f32 v[60:61], v[60:61], v[62:63] neg_lo:[0,1] neg_hi:[0,1]
	v_mov_b32_e32 v11, v9
	v_mov_b32_e32 v9, v53
	ds_write_b64 v244, v[8:9] offset:25088
	v_mov_b32_e32 v8, v64
	v_mov_b32_e32 v9, v61
	;; [unrolled: 1-line block ×3, first 2 shown]
	ds_write_b64 v244, v[8:9] offset:12544
	v_pk_add_f32 v[8:9], v[74:75], v[34:35]
	v_mov_b32_e32 v44, v43
	v_mov_b32_e32 v38, v37
	ds_write_b64 v244, v[10:11] offset:18816
	v_pk_add_f32 v[56:57], v[8:9], v[28:29]
	ds_read2_b64 v[8:11], v114 offset0:8 offset1:204
	v_pk_add_f32 v[36:37], v[44:45], v[38:39] neg_lo:[0,1] neg_hi:[0,1]
	v_pk_mul_f32 v[38:39], v[50:51], s[16:17]
	v_pk_mul_f32 v[0:1], v[0:1], s[6:7]
	v_mov_b32_e32 v61, v65
	v_pk_add_f32 v[58:59], v[32:33], v[24:25]
	v_pk_add_f32 v[40:41], v[46:47], v[40:41] neg_lo:[0,1] neg_hi:[0,1]
	v_mov_b32_e32 v42, v0
	v_mov_b32_e32 v43, v101
	;; [unrolled: 1-line block ×4, first 2 shown]
	ds_write_b64 v244, v[60:61] offset:31360
	v_mov_b32_e32 v24, v58
	v_mov_b32_e32 v60, v31
	;; [unrolled: 1-line block ×4, first 2 shown]
	v_pk_add_f32 v[58:59], v[48:49], v[58:59]
	v_mov_b32_e32 v48, v19
	v_pk_fma_f32 v[42:43], v[36:37], s[2:3], v[42:43] op_sel_hi:[1,0,1] neg_lo:[1,0,1] neg_hi:[1,0,1]
	v_pk_fma_f32 v[44:45], v[40:41], s[14:15], v[44:45] op_sel_hi:[1,0,1] neg_lo:[1,0,1] neg_hi:[1,0,1]
	v_pk_add_f32 v[60:61], v[24:25], v[60:61] neg_lo:[0,1] neg_hi:[0,1]
	v_pk_add_f32 v[48:49], v[48:49], v[32:33] neg_lo:[0,1] neg_hi:[0,1]
	v_pk_add_f32 v[42:43], v[42:43], v[4:5]
	v_pk_fma_f32 v[44:45], v[72:73], s[10:11], v[44:45] op_sel_hi:[1,0,1]
	v_mov_b32_e32 v101, v1
	v_pk_mul_f32 v[52:53], v[80:81], s[18:19]
	v_pk_mul_f32 v[60:61], v[60:61], s[8:9]
	v_pk_add_f32 v[46:47], v[42:43], v[44:45]
	v_pk_add_f32 v[42:43], v[42:43], v[44:45] neg_lo:[0,1] neg_hi:[0,1]
	v_pk_fma_f32 v[0:1], v[36:37], s[2:3], v[100:101] op_sel_hi:[1,0,1] neg_lo:[0,0,1] neg_hi:[0,0,1]
	v_pk_mul_f32 v[36:37], v[54:55], s[16:17]
	v_pk_mul_f32 v[44:45], v[48:49], s[6:7]
	v_mov_b32_e32 v32, v31
	v_mov_b32_e32 v24, v19
	s_waitcnt lgkmcnt(1)
	v_pk_add_f32 v[8:9], v[8:9], v[58:59]
	v_pk_add_f32 v[28:29], v[34:35], v[28:29] neg_lo:[0,1] neg_hi:[0,1]
	v_pk_add_f32 v[18:19], v[32:33], v[24:25] neg_lo:[0,1] neg_hi:[0,1]
	v_mov_b32_e32 v24, v44
	v_mov_b32_e32 v25, v61
	;; [unrolled: 1-line block ×4, first 2 shown]
	v_pk_fma_f32 v[58:59], v[58:59], s[12:13], v[8:9] op_sel_hi:[1,0,1] neg_lo:[1,0,0] neg_hi:[1,0,0]
	v_mov_b32_e32 v3, v2
	v_mov_b32_e32 v2, v21
	v_mov_b32_e32 v7, v6
	v_mov_b32_e32 v6, v13
	v_pk_fma_f32 v[24:25], v[18:19], s[2:3], v[24:25] op_sel_hi:[1,0,1] neg_lo:[1,0,1] neg_hi:[1,0,1]
	v_pk_fma_f32 v[30:31], v[28:29], s[14:15], v[30:31] op_sel_hi:[1,0,1] neg_lo:[1,0,1] neg_hi:[1,0,1]
	v_pk_add_f32 v[2:3], v[2:3], v[6:7]
	v_pk_add_f32 v[6:7], v[22:23], v[14:15]
	;; [unrolled: 1-line block ×3, first 2 shown]
	v_pk_fma_f32 v[30:31], v[56:57], s[10:11], v[30:31] op_sel_hi:[1,0,1]
	v_pk_fma_f32 v[62:63], v[48:49], s[6:7], v[60:61]
	v_pk_fma_f32 v[64:65], v[54:55], s[16:17], v[52:53]
	v_mov_b32_e32 v14, v6
	v_mov_b32_e32 v74, v21
	;; [unrolled: 1-line block ×3, first 2 shown]
	v_pk_add_f32 v[32:33], v[24:25], v[30:31]
	v_pk_add_f32 v[24:25], v[24:25], v[30:31] neg_lo:[0,1] neg_hi:[0,1]
	v_mov_b32_e32 v89, v97
	v_pk_add_f32 v[62:63], v[62:63], v[58:59]
	v_pk_fma_f32 v[64:65], v[56:57], s[10:11], v[64:65] op_sel_hi:[1,0,1]
	v_mov_b32_e32 v22, v6
	v_pk_add_f32 v[6:7], v[2:3], v[6:7]
	v_pk_add_f32 v[74:75], v[14:15], v[74:75] neg_lo:[0,1] neg_hi:[0,1]
	v_mov_b32_e32 v2, v13
	v_mov_b32_e32 v99, v39
	v_pk_add_f32 v[0:1], v[0:1], v[4:5]
	v_mov_b32_e32 v4, v46
	v_mov_b32_e32 v5, v43
	;; [unrolled: 1-line block ×6, first 2 shown]
	ds_write_b64 v244, v[88:89] offset:37632
	ds_write2_b64 v244, v[92:93], v[94:95] offset1:196
	v_pk_add_f32 v[66:67], v[62:63], v[64:65]
	v_pk_add_f32 v[62:63], v[62:63], v[64:65] neg_lo:[0,1] neg_hi:[0,1]
	v_pk_add_f32 v[10:11], v[10:11], v[6:7]
	v_pk_mul_f32 v[64:65], v[78:79], s[18:19]
	v_pk_add_f32 v[70:71], v[76:77], v[26:27]
	v_pk_add_f32 v[2:3], v[2:3], v[22:23] neg_lo:[0,1] neg_hi:[0,1]
	v_pk_mul_f32 v[74:75], v[74:75], s[8:9]
	v_pk_fma_f32 v[40:41], v[40:41], s[14:15], v[98:99] op_sel_hi:[1,0,1] neg_lo:[0,0,1] neg_hi:[0,0,1]
	ds_write2_b64 v209, v[4:5], v[30:31] offset0:36 offset1:232
	v_pk_fma_f32 v[4:5], v[18:19], s[2:3], v[60:61] op_sel_hi:[1,0,1] neg_lo:[0,0,1] neg_hi:[0,0,1]
	v_pk_fma_f32 v[18:19], v[28:29], s[14:15], v[52:53] op_sel_hi:[1,0,1] neg_lo:[0,0,1] neg_hi:[0,0,1]
	v_pk_add_f32 v[70:71], v[70:71], v[16:17]
	v_pk_fma_f32 v[6:7], v[6:7], s[12:13], v[10:11] op_sel_hi:[1,0,1] neg_lo:[1,0,0] neg_hi:[1,0,0]
	v_pk_fma_f32 v[76:77], v[2:3], s[6:7], v[74:75]
	v_pk_fma_f32 v[78:79], v[68:69], s[16:17], v[64:65]
	v_pk_fma_f32 v[40:41], v[72:73], s[10:11], v[40:41] op_sel_hi:[1,0,1]
	v_pk_add_f32 v[4:5], v[4:5], v[58:59]
	v_pk_fma_f32 v[18:19], v[56:57], s[10:11], v[18:19] op_sel_hi:[1,0,1]
	v_pk_add_f32 v[76:77], v[76:77], v[6:7]
	v_pk_fma_f32 v[78:79], v[70:71], s[10:11], v[78:79] op_sel_hi:[1,0,1]
	v_pk_add_f32 v[50:51], v[0:1], v[40:41] neg_lo:[0,1] neg_hi:[0,1]
	v_pk_add_f32 v[0:1], v[0:1], v[40:41]
	v_pk_add_f32 v[28:29], v[4:5], v[18:19] neg_lo:[0,1] neg_hi:[0,1]
	v_pk_add_f32 v[4:5], v[4:5], v[18:19]
	v_pk_add_f32 v[80:81], v[76:77], v[78:79]
	v_pk_add_f32 v[76:77], v[76:77], v[78:79] neg_lo:[0,1] neg_hi:[0,1]
	v_mov_b32_e32 v41, v1
	v_mov_b32_e32 v1, v51
	;; [unrolled: 1-line block ×4, first 2 shown]
	v_pk_mul_f32 v[38:39], v[68:69], s[16:17]
	v_pk_mul_f32 v[2:3], v[2:3], s[6:7]
	v_mov_b32_e32 v48, v104
	v_mov_b32_e32 v49, v103
	;; [unrolled: 1-line block ×8, first 2 shown]
	ds_write2_b64 v203, v[0:1], v[4:5] offset0:4 offset1:200
	v_mov_b32_e32 v25, v33
	v_mov_b32_e32 v63, v67
	v_mov_b32_e32 v0, v80
	v_mov_b32_e32 v1, v77
	v_mov_b32_e32 v22, v21
	v_mov_b32_e32 v14, v13
	ds_write2_b64 v219, v[48:49], v[46:47] offset0:20 offset1:216
	ds_write2_b64 v202, v[40:41], v[18:19] offset0:52 offset1:248
	ds_write2_b64 v208, v[42:43], v[24:25] offset0:20 offset1:216
	ds_write2_b64 v218, v[102:103], v[62:63] offset0:36 offset1:232
	ds_write2_b64 v114, v[8:9], v[10:11] offset0:8 offset1:204
	ds_write_b64 v244, v[0:1] offset:10976
	v_pk_add_f32 v[0:1], v[26:27], v[16:17] neg_lo:[0,1] neg_hi:[0,1]
	v_pk_add_f32 v[4:5], v[22:23], v[14:15] neg_lo:[0,1] neg_hi:[0,1]
	v_mov_b32_e32 v8, v2
	v_mov_b32_e32 v9, v75
	;; [unrolled: 1-line block ×6, first 2 shown]
	v_pk_fma_f32 v[8:9], v[4:5], s[2:3], v[8:9] op_sel_hi:[1,0,1] neg_lo:[1,0,1] neg_hi:[1,0,1]
	v_pk_fma_f32 v[10:11], v[0:1], s[14:15], v[10:11] op_sel_hi:[1,0,1] neg_lo:[1,0,1] neg_hi:[1,0,1]
	;; [unrolled: 1-line block ×4, first 2 shown]
	v_pk_add_f32 v[8:9], v[8:9], v[6:7]
	v_pk_fma_f32 v[10:11], v[70:71], s[10:11], v[10:11] op_sel_hi:[1,0,1]
	v_pk_add_f32 v[2:3], v[2:3], v[6:7]
	v_pk_fma_f32 v[0:1], v[70:71], s[10:11], v[0:1] op_sel_hi:[1,0,1]
	v_pk_add_f32 v[12:13], v[8:9], v[10:11]
	v_pk_add_f32 v[8:9], v[8:9], v[10:11] neg_lo:[0,1] neg_hi:[0,1]
	v_pk_add_f32 v[4:5], v[2:3], v[0:1] neg_lo:[0,1] neg_hi:[0,1]
	v_pk_add_f32 v[0:1], v[2:3], v[0:1]
	v_mov_b32_e32 v10, v12
	v_mov_b32_e32 v11, v9
	;; [unrolled: 1-line block ×7, first 2 shown]
	ds_write_b64 v244, v[10:11] offset:17248
	ds_write_b64 v244, v[2:3] offset:23520
	;; [unrolled: 1-line block ×5, first 2 shown]
	s_waitcnt lgkmcnt(0)
	s_barrier
	ds_read2_b64 v[0:3], v244 offset1:196
	v_accvgpr_read_b32 v6, a50
	v_accvgpr_read_b32 v7, a51
	v_mov_b32_e32 v8, s0
	v_mov_b32_e32 v9, s1
	s_waitcnt lgkmcnt(0)
	v_mul_f32_e32 v4, v7, v1
	v_fmac_f32_e32 v4, v6, v0
	v_mul_f32_e32 v0, v7, v0
	s_mov_b32 s0, 0x515a4f1d
	v_fma_f32 v0, v6, v1, -v0
	s_mov_b32 s1, 0x3f27e225
	v_cvt_f64_f32_e32 v[0:1], v0
	v_cvt_f64_f32_e32 v[4:5], v4
	v_mul_f64 v[0:1], v[0:1], s[0:1]
	v_mul_f64 v[4:5], v[4:5], s[0:1]
	v_cvt_f32_f64_e32 v11, v[0:1]
	v_mad_u64_u32 v[0:1], s[2:3], s4, v184, 0
	v_cvt_f32_f64_e32 v10, v[4:5]
	v_mov_b32_e32 v4, v1
	v_accvgpr_read_b32 v14, a0
	v_accvgpr_read_b32 v15, a2
	v_mad_u64_u32 v[12:13], s[2:3], s5, v184, v[4:5]
	ds_read2_b64 v[4:7], v116 offset0:16 offset1:212
	v_mov_b32_e32 v1, v12
	v_lshl_add_u64 v[8:9], v[14:15], 3, v[8:9]
	v_lshl_add_u64 v[0:1], v[0:1], 3, v[8:9]
	global_store_dwordx2 v[0:1], v[10:11], off
	v_accvgpr_read_b32 v10, a58
	v_accvgpr_read_b32 v11, a59
	s_waitcnt lgkmcnt(0)
	v_mul_f32_e32 v8, v11, v5
	v_fmac_f32_e32 v8, v10, v4
	v_cvt_f64_f32_e32 v[8:9], v8
	v_mul_f32_e32 v4, v11, v4
	v_mul_f64 v[8:9], v[8:9], s[0:1]
	v_fma_f32 v4, v10, v5, -v4
	v_cvt_f32_f64_e32 v12, v[8:9]
	v_cvt_f64_f32_e32 v[4:5], v4
	ds_read2_b64 v[8:11], v195 offset0:32 offset1:228
	v_mad_u64_u32 v[0:1], s[2:3], s4, v166, v[0:1]
	v_mul_f64 v[4:5], v[4:5], s[0:1]
	s_mul_i32 s2, s5, 0x1880
	v_cvt_f32_f64_e32 v13, v[4:5]
	v_add_u32_e32 v1, s2, v1
	global_store_dwordx2 v[0:1], v[12:13], off
	v_accvgpr_read_b32 v12, a52
	v_accvgpr_read_b32 v13, a53
	s_waitcnt lgkmcnt(0)
	v_mul_f32_e32 v4, v13, v9
	v_fmac_f32_e32 v4, v12, v8
	v_cvt_f64_f32_e32 v[4:5], v4
	v_mul_f64 v[4:5], v[4:5], s[0:1]
	v_cvt_f32_f64_e32 v4, v[4:5]
	v_mul_f32_e32 v5, v13, v8
	v_fma_f32 v5, v12, v9, -v5
	ds_read2_b64 v[12:15], v194 offset0:48 offset1:244
	v_cvt_f64_f32_e32 v[8:9], v5
	v_mul_f64 v[8:9], v[8:9], s[0:1]
	v_cvt_f32_f64_e32 v5, v[8:9]
	v_mad_u64_u32 v[0:1], s[6:7], s4, v166, v[0:1]
	v_accvgpr_read_b32 v8, a54
	v_add_u32_e32 v1, s2, v1
	v_accvgpr_read_b32 v9, a55
	global_store_dwordx2 v[0:1], v[4:5], off
	s_waitcnt lgkmcnt(0)
	v_mul_f32_e32 v4, v9, v13
	v_fmac_f32_e32 v4, v8, v12
	v_cvt_f64_f32_e32 v[4:5], v4
	v_mul_f64 v[4:5], v[4:5], s[0:1]
	v_cvt_f32_f64_e32 v4, v[4:5]
	v_mul_f32_e32 v5, v9, v12
	v_fma_f32 v5, v8, v13, -v5
	ds_read2_b64 v[16:19], v193 offset1:196
	v_cvt_f64_f32_e32 v[8:9], v5
	v_mul_f64 v[8:9], v[8:9], s[0:1]
	v_cvt_f32_f64_e32 v5, v[8:9]
	v_mad_u64_u32 v[0:1], s[6:7], s4, v166, v[0:1]
	v_accvgpr_read_b32 v8, a46
	v_add_u32_e32 v1, s2, v1
	v_accvgpr_read_b32 v9, a47
	global_store_dwordx2 v[0:1], v[4:5], off
	s_waitcnt lgkmcnt(0)
	v_mul_f32_e32 v4, v9, v17
	v_fmac_f32_e32 v4, v8, v16
	v_cvt_f64_f32_e32 v[4:5], v4
	v_mul_f64 v[4:5], v[4:5], s[0:1]
	v_cvt_f32_f64_e32 v4, v[4:5]
	v_mul_f32_e32 v5, v9, v16
	v_fma_f32 v5, v8, v17, -v5
	ds_read2_b64 v[20:23], v115 offset0:16 offset1:212
	v_cvt_f64_f32_e32 v[8:9], v5
	v_mul_f64 v[8:9], v[8:9], s[0:1]
	v_cvt_f32_f64_e32 v5, v[8:9]
	v_mad_u64_u32 v[0:1], s[6:7], s4, v166, v[0:1]
	v_accvgpr_read_b32 v8, a56
	v_add_u32_e32 v1, s2, v1
	v_accvgpr_read_b32 v9, a57
	global_store_dwordx2 v[0:1], v[4:5], off
	s_waitcnt lgkmcnt(0)
	v_mul_f32_e32 v4, v9, v21
	v_fmac_f32_e32 v4, v8, v20
	v_cvt_f64_f32_e32 v[4:5], v4
	v_mul_f64 v[4:5], v[4:5], s[0:1]
	v_cvt_f32_f64_e32 v4, v[4:5]
	v_mul_f32_e32 v5, v9, v20
	v_fma_f32 v5, v8, v21, -v5
	ds_read2_b64 v[24:27], v200 offset0:32 offset1:228
	v_cvt_f64_f32_e32 v[8:9], v5
	v_mul_f64 v[8:9], v[8:9], s[0:1]
	v_cvt_f32_f64_e32 v5, v[8:9]
	v_mad_u64_u32 v[0:1], s[6:7], s4, v166, v[0:1]
	v_accvgpr_read_b32 v8, a48
	v_add_u32_e32 v1, s2, v1
	v_accvgpr_read_b32 v9, a49
	global_store_dwordx2 v[0:1], v[4:5], off
	s_waitcnt lgkmcnt(0)
	v_mul_f32_e32 v4, v9, v25
	v_fmac_f32_e32 v4, v8, v24
	v_cvt_f64_f32_e32 v[4:5], v4
	v_mul_f64 v[4:5], v[4:5], s[0:1]
	v_cvt_f32_f64_e32 v4, v[4:5]
	v_mul_f32_e32 v5, v9, v24
	v_fma_f32 v5, v8, v25, -v5
	v_cvt_f64_f32_e32 v[8:9], v5
	v_mul_f64 v[8:9], v[8:9], s[0:1]
	v_cvt_f32_f64_e32 v5, v[8:9]
	v_mad_u64_u32 v[0:1], s[6:7], s4, v166, v[0:1]
	v_accvgpr_read_b32 v8, a44
	v_add_u32_e32 v1, s2, v1
	v_accvgpr_read_b32 v9, a45
	global_store_dwordx2 v[0:1], v[4:5], off
	v_mul_f32_e32 v4, v9, v3
	v_fmac_f32_e32 v4, v8, v2
	v_mul_f32_e32 v2, v9, v2
	v_fma_f32 v2, v8, v3, -v2
	v_cvt_f64_f32_e32 v[4:5], v4
	v_cvt_f64_f32_e32 v[2:3], v2
	v_mov_b32_e32 v12, 0xffff7320
	s_mul_i32 s3, s5, 0xffff7320
	v_mul_f64 v[4:5], v[4:5], s[0:1]
	v_mul_f64 v[2:3], v[2:3], s[0:1]
	v_mad_u64_u32 v[0:1], s[6:7], s4, v12, v[0:1]
	s_sub_i32 s3, s3, s4
	v_cvt_f32_f64_e32 v4, v[4:5]
	v_cvt_f32_f64_e32 v5, v[2:3]
	v_add_u32_e32 v1, s3, v1
	global_store_dwordx2 v[0:1], v[4:5], off
	v_accvgpr_read_b32 v4, a40
	v_accvgpr_read_b32 v5, a41
	v_mul_f32_e32 v2, v5, v7
	v_fmac_f32_e32 v2, v4, v6
	v_cvt_f64_f32_e32 v[2:3], v2
	v_mul_f64 v[2:3], v[2:3], s[0:1]
	v_cvt_f32_f64_e32 v2, v[2:3]
	v_mul_f32_e32 v3, v5, v6
	v_fma_f32 v3, v4, v7, -v3
	v_cvt_f64_f32_e32 v[4:5], v3
	v_mul_f64 v[4:5], v[4:5], s[0:1]
	v_cvt_f32_f64_e32 v3, v[4:5]
	v_mad_u64_u32 v[0:1], s[6:7], s4, v166, v[0:1]
	v_accvgpr_read_b32 v4, a36
	v_add_u32_e32 v1, s2, v1
	v_accvgpr_read_b32 v5, a37
	global_store_dwordx2 v[0:1], v[2:3], off
	v_mul_f32_e32 v2, v5, v11
	v_fmac_f32_e32 v2, v4, v10
	v_cvt_f64_f32_e32 v[2:3], v2
	v_mul_f64 v[2:3], v[2:3], s[0:1]
	v_cvt_f32_f64_e32 v2, v[2:3]
	v_mul_f32_e32 v3, v5, v10
	v_fma_f32 v3, v4, v11, -v3
	v_cvt_f64_f32_e32 v[4:5], v3
	v_mul_f64 v[4:5], v[4:5], s[0:1]
	v_cvt_f32_f64_e32 v3, v[4:5]
	v_mad_u64_u32 v[0:1], s[6:7], s4, v166, v[0:1]
	v_accvgpr_read_b32 v4, a32
	v_add_u32_e32 v1, s2, v1
	v_accvgpr_read_b32 v5, a33
	global_store_dwordx2 v[0:1], v[2:3], off
	;; [unrolled: 15-line block ×4, first 2 shown]
	v_mul_f32_e32 v2, v5, v23
	v_fmac_f32_e32 v2, v4, v22
	v_cvt_f64_f32_e32 v[2:3], v2
	v_mul_f64 v[2:3], v[2:3], s[0:1]
	v_cvt_f32_f64_e32 v2, v[2:3]
	v_mul_f32_e32 v3, v5, v22
	v_fma_f32 v3, v4, v23, -v3
	v_cvt_f64_f32_e32 v[4:5], v3
	v_mul_f64 v[4:5], v[4:5], s[0:1]
	v_cvt_f32_f64_e32 v3, v[4:5]
	v_mad_u64_u32 v[4:5], s[6:7], s4, v166, v[0:1]
	v_add_u32_e32 v5, s2, v5
	global_store_dwordx2 v[4:5], v[2:3], off
	v_accvgpr_read_b32 v2, a14
	v_accvgpr_read_b32 v3, a15
	v_mul_f32_e32 v0, v3, v27
	v_fmac_f32_e32 v0, v2, v26
	v_cvt_f64_f32_e32 v[0:1], v0
	v_mul_f64 v[0:1], v[0:1], s[0:1]
	v_cvt_f32_f64_e32 v6, v[0:1]
	v_mul_f32_e32 v0, v3, v26
	v_fma_f32 v0, v2, v27, -v0
	v_cvt_f64_f32_e32 v[0:1], v0
	v_mul_f64 v[0:1], v[0:1], s[0:1]
	v_cvt_f32_f64_e32 v7, v[0:1]
	ds_read2_b64 v[0:3], v114 offset0:8 offset1:204
	v_mad_u64_u32 v[8:9], s[6:7], s4, v166, v[4:5]
	v_add_u32_e32 v9, s2, v9
	global_store_dwordx2 v[8:9], v[6:7], off
	v_accvgpr_read_b32 v6, a42
	v_accvgpr_read_b32 v7, a43
	s_waitcnt lgkmcnt(0)
	v_mul_f32_e32 v4, v7, v1
	v_fmac_f32_e32 v4, v6, v0
	v_mul_f32_e32 v0, v7, v0
	v_cvt_f64_f32_e32 v[4:5], v4
	v_fma_f32 v0, v6, v1, -v0
	v_mul_f64 v[4:5], v[4:5], s[0:1]
	v_cvt_f64_f32_e32 v[0:1], v0
	v_cvt_f32_f64_e32 v10, v[4:5]
	v_mul_f64 v[0:1], v[0:1], s[0:1]
	ds_read2_b64 v[4:7], v117 offset0:24 offset1:220
	v_cvt_f32_f64_e32 v11, v[0:1]
	v_mad_u64_u32 v[0:1], s[6:7], s4, v12, v[8:9]
	v_add_u32_e32 v1, s3, v1
	global_store_dwordx2 v[0:1], v[10:11], off
	v_accvgpr_read_b32 v10, a34
	v_accvgpr_read_b32 v11, a35
	s_waitcnt lgkmcnt(0)
	v_mul_f32_e32 v8, v11, v5
	v_fmac_f32_e32 v8, v10, v4
	v_cvt_f64_f32_e32 v[8:9], v8
	v_mul_f32_e32 v4, v11, v4
	v_mul_f64 v[8:9], v[8:9], s[0:1]
	v_fma_f32 v4, v10, v5, -v4
	v_cvt_f32_f64_e32 v12, v[8:9]
	v_cvt_f64_f32_e32 v[4:5], v4
	ds_read2_b64 v[8:11], v199 offset0:40 offset1:236
	v_mul_f64 v[4:5], v[4:5], s[0:1]
	v_mad_u64_u32 v[0:1], s[6:7], s4, v166, v[0:1]
	v_cvt_f32_f64_e32 v13, v[4:5]
	v_add_u32_e32 v1, s2, v1
	global_store_dwordx2 v[0:1], v[12:13], off
	v_accvgpr_read_b32 v12, a28
	v_accvgpr_read_b32 v13, a29
	s_waitcnt lgkmcnt(0)
	v_mul_f32_e32 v4, v13, v9
	v_fmac_f32_e32 v4, v12, v8
	v_cvt_f64_f32_e32 v[4:5], v4
	v_mul_f64 v[4:5], v[4:5], s[0:1]
	v_cvt_f32_f64_e32 v4, v[4:5]
	v_mul_f32_e32 v5, v13, v8
	v_fma_f32 v5, v12, v9, -v5
	ds_read2_b64 v[12:15], v192 offset0:56 offset1:252
	v_cvt_f64_f32_e32 v[8:9], v5
	v_mul_f64 v[8:9], v[8:9], s[0:1]
	v_cvt_f32_f64_e32 v5, v[8:9]
	v_mad_u64_u32 v[0:1], s[6:7], s4, v166, v[0:1]
	v_accvgpr_read_b32 v8, a26
	v_add_u32_e32 v1, s2, v1
	v_accvgpr_read_b32 v9, a27
	global_store_dwordx2 v[0:1], v[4:5], off
	s_waitcnt lgkmcnt(0)
	v_mul_f32_e32 v4, v9, v13
	v_fmac_f32_e32 v4, v8, v12
	v_cvt_f64_f32_e32 v[4:5], v4
	v_mul_f64 v[4:5], v[4:5], s[0:1]
	v_cvt_f32_f64_e32 v4, v[4:5]
	v_mul_f32_e32 v5, v9, v12
	v_fma_f32 v5, v8, v13, -v5
	ds_read2_b64 v[16:19], v189 offset0:8 offset1:204
	v_cvt_f64_f32_e32 v[8:9], v5
	v_mul_f64 v[8:9], v[8:9], s[0:1]
	v_cvt_f32_f64_e32 v5, v[8:9]
	v_mad_u64_u32 v[0:1], s[6:7], s4, v166, v[0:1]
	v_accvgpr_read_b32 v8, a24
	v_add_u32_e32 v1, s2, v1
	v_accvgpr_read_b32 v9, a25
	global_store_dwordx2 v[0:1], v[4:5], off
	;; [unrolled: 17-line block ×4, first 2 shown]
	s_waitcnt lgkmcnt(0)
	v_mul_f32_e32 v4, v9, v25
	v_fmac_f32_e32 v4, v8, v24
	v_cvt_f64_f32_e32 v[4:5], v4
	v_mul_f64 v[4:5], v[4:5], s[0:1]
	v_cvt_f32_f64_e32 v4, v[4:5]
	v_mul_f32_e32 v5, v9, v24
	v_fma_f32 v5, v8, v25, -v5
	v_cvt_f64_f32_e32 v[8:9], v5
	v_mul_f64 v[8:9], v[8:9], s[0:1]
	v_cvt_f32_f64_e32 v5, v[8:9]
	v_mad_u64_u32 v[0:1], s[6:7], s4, v166, v[0:1]
	v_accvgpr_read_b32 v8, a18
	v_add_u32_e32 v1, s2, v1
	v_accvgpr_read_b32 v9, a19
	global_store_dwordx2 v[0:1], v[4:5], off
	v_mul_f32_e32 v4, v9, v3
	v_fmac_f32_e32 v4, v8, v2
	v_mul_f32_e32 v2, v9, v2
	v_fma_f32 v2, v8, v3, -v2
	v_mov_b32_e32 v28, 0xffff7320
	v_cvt_f64_f32_e32 v[4:5], v4
	v_cvt_f64_f32_e32 v[2:3], v2
	v_mul_f64 v[4:5], v[4:5], s[0:1]
	v_mul_f64 v[2:3], v[2:3], s[0:1]
	v_mad_u64_u32 v[0:1], s[6:7], s4, v28, v[0:1]
	v_cvt_f32_f64_e32 v4, v[4:5]
	v_cvt_f32_f64_e32 v5, v[2:3]
	v_add_u32_e32 v1, s3, v1
	global_store_dwordx2 v[0:1], v[4:5], off
	v_accvgpr_read_b32 v4, a16
	v_accvgpr_read_b32 v5, a17
	v_mul_f32_e32 v2, v5, v7
	v_fmac_f32_e32 v2, v4, v6
	v_cvt_f64_f32_e32 v[2:3], v2
	v_mul_f64 v[2:3], v[2:3], s[0:1]
	v_cvt_f32_f64_e32 v2, v[2:3]
	v_mul_f32_e32 v3, v5, v6
	v_fma_f32 v3, v4, v7, -v3
	v_cvt_f64_f32_e32 v[4:5], v3
	v_mul_f64 v[4:5], v[4:5], s[0:1]
	v_cvt_f32_f64_e32 v3, v[4:5]
	v_mad_u64_u32 v[0:1], s[6:7], s4, v166, v[0:1]
	v_accvgpr_read_b32 v4, a12
	v_add_u32_e32 v1, s2, v1
	v_accvgpr_read_b32 v5, a13
	global_store_dwordx2 v[0:1], v[2:3], off
	v_mul_f32_e32 v2, v5, v11
	v_fmac_f32_e32 v2, v4, v10
	v_cvt_f64_f32_e32 v[2:3], v2
	v_mul_f64 v[2:3], v[2:3], s[0:1]
	v_cvt_f32_f64_e32 v2, v[2:3]
	v_mul_f32_e32 v3, v5, v10
	v_fma_f32 v3, v4, v11, -v3
	v_cvt_f64_f32_e32 v[4:5], v3
	v_mul_f64 v[4:5], v[4:5], s[0:1]
	v_cvt_f32_f64_e32 v3, v[4:5]
	v_mad_u64_u32 v[0:1], s[6:7], s4, v166, v[0:1]
	v_accvgpr_read_b32 v4, a10
	v_add_u32_e32 v1, s2, v1
	v_accvgpr_read_b32 v5, a11
	global_store_dwordx2 v[0:1], v[2:3], off
	;; [unrolled: 15-line block ×5, first 2 shown]
	v_mul_f32_e32 v2, v5, v27
	v_fmac_f32_e32 v2, v4, v26
	v_cvt_f64_f32_e32 v[2:3], v2
	v_mul_f64 v[2:3], v[2:3], s[0:1]
	v_cvt_f32_f64_e32 v2, v[2:3]
	v_mul_f32_e32 v3, v5, v26
	v_fma_f32 v3, v4, v27, -v3
	v_cvt_f64_f32_e32 v[4:5], v3
	v_mul_f64 v[4:5], v[4:5], s[0:1]
	v_mad_u64_u32 v[0:1], s[0:1], s4, v166, v[0:1]
	v_cvt_f32_f64_e32 v3, v[4:5]
	v_add_u32_e32 v1, s2, v1
	global_store_dwordx2 v[0:1], v[2:3], off
.LBB0_2:
	s_endpgm
	.section	.rodata,"a",@progbits
	.p2align	6, 0x0
	.amdhsa_kernel bluestein_single_fwd_len5488_dim1_sp_op_CI_CI
		.amdhsa_group_segment_fixed_size 43904
		.amdhsa_private_segment_fixed_size 0
		.amdhsa_kernarg_size 104
		.amdhsa_user_sgpr_count 2
		.amdhsa_user_sgpr_dispatch_ptr 0
		.amdhsa_user_sgpr_queue_ptr 0
		.amdhsa_user_sgpr_kernarg_segment_ptr 1
		.amdhsa_user_sgpr_dispatch_id 0
		.amdhsa_user_sgpr_kernarg_preload_length 0
		.amdhsa_user_sgpr_kernarg_preload_offset 0
		.amdhsa_user_sgpr_private_segment_size 0
		.amdhsa_uses_dynamic_stack 0
		.amdhsa_enable_private_segment 0
		.amdhsa_system_sgpr_workgroup_id_x 1
		.amdhsa_system_sgpr_workgroup_id_y 0
		.amdhsa_system_sgpr_workgroup_id_z 0
		.amdhsa_system_sgpr_workgroup_info 0
		.amdhsa_system_vgpr_workitem_id 0
		.amdhsa_next_free_vgpr 424
		.amdhsa_next_free_sgpr 24
		.amdhsa_accum_offset 256
		.amdhsa_reserve_vcc 1
		.amdhsa_float_round_mode_32 0
		.amdhsa_float_round_mode_16_64 0
		.amdhsa_float_denorm_mode_32 3
		.amdhsa_float_denorm_mode_16_64 3
		.amdhsa_dx10_clamp 1
		.amdhsa_ieee_mode 1
		.amdhsa_fp16_overflow 0
		.amdhsa_tg_split 0
		.amdhsa_exception_fp_ieee_invalid_op 0
		.amdhsa_exception_fp_denorm_src 0
		.amdhsa_exception_fp_ieee_div_zero 0
		.amdhsa_exception_fp_ieee_overflow 0
		.amdhsa_exception_fp_ieee_underflow 0
		.amdhsa_exception_fp_ieee_inexact 0
		.amdhsa_exception_int_div_zero 0
	.end_amdhsa_kernel
	.text
.Lfunc_end0:
	.size	bluestein_single_fwd_len5488_dim1_sp_op_CI_CI, .Lfunc_end0-bluestein_single_fwd_len5488_dim1_sp_op_CI_CI
                                        ; -- End function
	.section	.AMDGPU.csdata,"",@progbits
; Kernel info:
; codeLenInByte = 32696
; NumSgprs: 30
; NumVgprs: 256
; NumAgprs: 168
; TotalNumVgprs: 424
; ScratchSize: 0
; MemoryBound: 0
; FloatMode: 240
; IeeeMode: 1
; LDSByteSize: 43904 bytes/workgroup (compile time only)
; SGPRBlocks: 3
; VGPRBlocks: 52
; NumSGPRsForWavesPerEU: 30
; NumVGPRsForWavesPerEU: 424
; AccumOffset: 256
; Occupancy: 1
; WaveLimiterHint : 1
; COMPUTE_PGM_RSRC2:SCRATCH_EN: 0
; COMPUTE_PGM_RSRC2:USER_SGPR: 2
; COMPUTE_PGM_RSRC2:TRAP_HANDLER: 0
; COMPUTE_PGM_RSRC2:TGID_X_EN: 1
; COMPUTE_PGM_RSRC2:TGID_Y_EN: 0
; COMPUTE_PGM_RSRC2:TGID_Z_EN: 0
; COMPUTE_PGM_RSRC2:TIDIG_COMP_CNT: 0
; COMPUTE_PGM_RSRC3_GFX90A:ACCUM_OFFSET: 63
; COMPUTE_PGM_RSRC3_GFX90A:TG_SPLIT: 0
	.text
	.p2alignl 6, 3212836864
	.fill 256, 4, 3212836864
	.type	__hip_cuid_8760b37122f15d74,@object ; @__hip_cuid_8760b37122f15d74
	.section	.bss,"aw",@nobits
	.globl	__hip_cuid_8760b37122f15d74
__hip_cuid_8760b37122f15d74:
	.byte	0                               ; 0x0
	.size	__hip_cuid_8760b37122f15d74, 1

	.ident	"AMD clang version 19.0.0git (https://github.com/RadeonOpenCompute/llvm-project roc-6.4.0 25133 c7fe45cf4b819c5991fe208aaa96edf142730f1d)"
	.section	".note.GNU-stack","",@progbits
	.addrsig
	.addrsig_sym __hip_cuid_8760b37122f15d74
	.amdgpu_metadata
---
amdhsa.kernels:
  - .agpr_count:     168
    .args:
      - .actual_access:  read_only
        .address_space:  global
        .offset:         0
        .size:           8
        .value_kind:     global_buffer
      - .actual_access:  read_only
        .address_space:  global
        .offset:         8
        .size:           8
        .value_kind:     global_buffer
      - .actual_access:  read_only
        .address_space:  global
        .offset:         16
        .size:           8
        .value_kind:     global_buffer
      - .actual_access:  read_only
        .address_space:  global
        .offset:         24
        .size:           8
        .value_kind:     global_buffer
      - .actual_access:  read_only
        .address_space:  global
        .offset:         32
        .size:           8
        .value_kind:     global_buffer
      - .offset:         40
        .size:           8
        .value_kind:     by_value
      - .address_space:  global
        .offset:         48
        .size:           8
        .value_kind:     global_buffer
      - .address_space:  global
        .offset:         56
        .size:           8
        .value_kind:     global_buffer
      - .address_space:  global
        .offset:         64
        .size:           8
        .value_kind:     global_buffer
      - .address_space:  global
        .offset:         72
        .size:           8
        .value_kind:     global_buffer
      - .offset:         80
        .size:           4
        .value_kind:     by_value
      - .address_space:  global
        .offset:         88
        .size:           8
        .value_kind:     global_buffer
      - .address_space:  global
        .offset:         96
        .size:           8
        .value_kind:     global_buffer
    .group_segment_fixed_size: 43904
    .kernarg_segment_align: 8
    .kernarg_segment_size: 104
    .language:       OpenCL C
    .language_version:
      - 2
      - 0
    .max_flat_workgroup_size: 196
    .name:           bluestein_single_fwd_len5488_dim1_sp_op_CI_CI
    .private_segment_fixed_size: 0
    .sgpr_count:     30
    .sgpr_spill_count: 0
    .symbol:         bluestein_single_fwd_len5488_dim1_sp_op_CI_CI.kd
    .uniform_work_group_size: 1
    .uses_dynamic_stack: false
    .vgpr_count:     424
    .vgpr_spill_count: 0
    .wavefront_size: 64
amdhsa.target:   amdgcn-amd-amdhsa--gfx950
amdhsa.version:
  - 1
  - 2
...

	.end_amdgpu_metadata
